;; amdgpu-corpus repo=ROCm/rocFFT kind=compiled arch=gfx1030 opt=O3
	.text
	.amdgcn_target "amdgcn-amd-amdhsa--gfx1030"
	.amdhsa_code_object_version 6
	.protected	bluestein_single_back_len540_dim1_half_op_CI_CI ; -- Begin function bluestein_single_back_len540_dim1_half_op_CI_CI
	.globl	bluestein_single_back_len540_dim1_half_op_CI_CI
	.p2align	8
	.type	bluestein_single_back_len540_dim1_half_op_CI_CI,@function
bluestein_single_back_len540_dim1_half_op_CI_CI: ; @bluestein_single_back_len540_dim1_half_op_CI_CI
; %bb.0:
	s_load_dwordx4 s[8:11], s[4:5], 0x28
	v_mul_u32_u24_e32 v1, 0x4be, v0
	v_mov_b32_e32 v19, 0
	s_mov_b32 s0, exec_lo
	v_lshrrev_b32_e32 v2, 16, v1
	v_lshl_add_u32 v18, s6, 2, v2
	s_waitcnt lgkmcnt(0)
	v_cmpx_gt_u64_e64 s[8:9], v[18:19]
	s_cbranch_execz .LBB0_31
; %bb.1:
	s_load_dwordx4 s[0:3], s[4:5], 0x18
	v_mul_lo_u16 v1, v2, 54
	v_sub_nc_u16 v8, v0, v1
	v_and_b32_e32 v49, 0xffff, v8
	v_lshlrev_b32_e32 v37, 2, v49
	s_waitcnt lgkmcnt(0)
	s_load_dwordx4 s[12:15], s[0:1], 0x0
	s_load_dwordx2 s[0:1], s[4:5], 0x0
	s_waitcnt lgkmcnt(0)
	v_mad_u64_u32 v[0:1], null, s14, v18, 0
	v_mad_u64_u32 v[3:4], null, s12, v49, 0
	s_mul_i32 s7, s13, 0xb4
	s_mul_hi_u32 s9, s12, 0xb4
	s_mul_i32 s6, s12, 0xb4
	s_mul_i32 s14, s13, 0xfffffece
	v_mad_u64_u32 v[5:6], null, s15, v18, v[1:2]
	s_add_i32 s7, s9, s7
	s_mul_i32 s8, s12, 0xfffffece
	s_clause 0x2
	global_load_dword v50, v37, s[0:1] offset:720
	global_load_dword v51, v37, s[0:1]
	global_load_dword v48, v37, s[0:1] offset:216
	v_and_b32_e32 v2, 3, v2
	v_mad_u64_u32 v[6:7], null, s13, v49, v[4:5]
	v_mov_b32_e32 v1, v5
	s_mul_hi_u32 s13, s12, 0xfffffece
	v_mul_u32_u24_e32 v38, 0x21c, v2
	s_sub_i32 s9, s13, s12
	s_lshl_b64 s[12:13], s[6:7], 2
	v_lshlrev_b64 v[0:1], 2, v[0:1]
	v_mov_b32_e32 v4, v6
	s_add_i32 s9, s9, s14
	v_lshlrev_b32_e32 v53, 2, v38
	s_lshl_b64 s[14:15], s[8:9], 2
	v_add_co_u32 v0, vcc_lo, s10, v0
	v_lshlrev_b64 v[3:4], 2, v[3:4]
	v_add_co_ci_u32_e32 v1, vcc_lo, s11, v1, vcc_lo
	v_add_nc_u32_e32 v42, v53, v37
	v_add_co_u32 v0, vcc_lo, v0, v3
	v_add_co_ci_u32_e32 v1, vcc_lo, v1, v4, vcc_lo
	v_add_nc_u32_e32 v6, 0x200, v42
	global_load_dword v5, v[0:1], off
	v_add_co_u32 v0, vcc_lo, v0, s12
	v_add_co_ci_u32_e32 v1, vcc_lo, s13, v1, vcc_lo
	v_add_co_u32 v3, vcc_lo, v0, s12
	v_add_co_ci_u32_e32 v4, vcc_lo, s13, v1, vcc_lo
	global_load_dword v7, v[0:1], off
	v_add_co_u32 v0, vcc_lo, v3, s14
	v_add_co_ci_u32_e32 v1, vcc_lo, s15, v4, vcc_lo
	global_load_dword v47, v37, s[0:1] offset:936
	global_load_dword v9, v[3:4], off
	s_clause 0x1
	global_load_dword v52, v37, s[0:1] offset:1440
	global_load_dword v46, v37, s[0:1] offset:1656
	global_load_dword v10, v[0:1], off
	v_add_co_u32 v0, vcc_lo, v0, s12
	v_add_co_ci_u32_e32 v1, vcc_lo, s13, v1, vcc_lo
	global_load_dword v44, v37, s[0:1] offset:1152
	v_add_co_u32 v3, vcc_lo, v0, s12
	v_add_co_ci_u32_e32 v4, vcc_lo, s13, v1, vcc_lo
	global_load_dword v11, v[0:1], off
	v_add_co_u32 v0, vcc_lo, v3, s14
	v_add_co_ci_u32_e32 v1, vcc_lo, s15, v4, vcc_lo
	global_load_dword v12, v[3:4], off
	;; [unrolled: 3-line block ×3, first 2 shown]
	v_add_co_u32 v0, vcc_lo, v3, s12
	v_add_co_ci_u32_e32 v1, vcc_lo, s13, v4, vcc_lo
	global_load_dword v45, v37, s[0:1] offset:432
	global_load_dword v3, v[3:4], off
	global_load_dword v4, v[0:1], off
	global_load_dword v43, v37, s[0:1] offset:1872
	s_load_dwordx2 s[6:7], s[4:5], 0x38
	s_load_dwordx4 s[8:11], s[2:3], 0x0
	v_add_co_u32 v16, s0, s0, v37
	v_add_co_ci_u32_e64 v17, null, s1, 0, s0
	v_cmp_gt_u16_e32 vcc_lo, 18, v8
	s_waitcnt vmcnt(14)
	v_lshrrev_b32_e32 v2, 16, v5
	v_mul_f16_sdwa v14, v51, v5 dst_sel:DWORD dst_unused:UNUSED_PAD src0_sel:WORD_1 src1_sel:DWORD
	v_mul_f16_sdwa v15, v51, v2 dst_sel:DWORD dst_unused:UNUSED_PAD src0_sel:WORD_1 src1_sel:DWORD
	v_fma_f16 v2, v51, v2, -v14
	s_waitcnt vmcnt(13)
	v_lshrrev_b32_e32 v19, 16, v7
	v_mul_f16_sdwa v20, v50, v7 dst_sel:DWORD dst_unused:UNUSED_PAD src0_sel:WORD_1 src1_sel:DWORD
	v_fmac_f16_e32 v15, v51, v5
	s_waitcnt vmcnt(11)
	v_lshrrev_b32_e32 v14, 16, v9
	v_mul_f16_sdwa v5, v50, v19 dst_sel:DWORD dst_unused:UNUSED_PAD src0_sel:WORD_1 src1_sel:DWORD
	v_fma_f16 v19, v50, v19, -v20
	s_waitcnt vmcnt(10)
	v_mul_f16_sdwa v20, v52, v9 dst_sel:DWORD dst_unused:UNUSED_PAD src0_sel:WORD_1 src1_sel:DWORD
	v_pack_b32_f16 v15, v15, v2
	v_mul_f16_sdwa v2, v52, v14 dst_sel:DWORD dst_unused:UNUSED_PAD src0_sel:WORD_1 src1_sel:DWORD
	v_fmac_f16_e32 v5, v50, v7
	s_waitcnt vmcnt(8)
	v_lshrrev_b32_e32 v7, 16, v10
	v_fma_f16 v14, v52, v14, -v20
	v_mul_f16_sdwa v21, v48, v10 dst_sel:DWORD dst_unused:UNUSED_PAD src0_sel:WORD_1 src1_sel:DWORD
	v_fmac_f16_e32 v2, v52, v9
	v_pack_b32_f16 v5, v5, v19
	v_mul_f16_sdwa v9, v48, v7 dst_sel:DWORD dst_unused:UNUSED_PAD src0_sel:WORD_1 src1_sel:DWORD
	s_waitcnt vmcnt(6)
	v_lshrrev_b32_e32 v19, 16, v11
	v_fma_f16 v7, v48, v7, -v21
	v_pack_b32_f16 v2, v2, v14
	v_mul_f16_sdwa v20, v47, v11 dst_sel:DWORD dst_unused:UNUSED_PAD src0_sel:WORD_1 src1_sel:DWORD
	v_fmac_f16_e32 v9, v48, v10
	s_waitcnt vmcnt(5)
	v_lshrrev_b32_e32 v10, 16, v12
	ds_write_b32 v42, v5 offset:720
	v_mul_f16_sdwa v5, v47, v19 dst_sel:DWORD dst_unused:UNUSED_PAD src0_sel:WORD_1 src1_sel:DWORD
	ds_write_b32 v42, v2 offset:1440
	v_fma_f16 v14, v47, v19, -v20
	v_mul_f16_sdwa v2, v46, v10 dst_sel:DWORD dst_unused:UNUSED_PAD src0_sel:WORD_1 src1_sel:DWORD
	v_mul_f16_sdwa v19, v46, v12 dst_sel:DWORD dst_unused:UNUSED_PAD src0_sel:WORD_1 src1_sel:DWORD
	v_pack_b32_f16 v7, v9, v7
	s_waitcnt vmcnt(4)
	v_lshrrev_b32_e32 v9, 16, v13
	v_fmac_f16_e32 v5, v47, v11
	s_waitcnt vmcnt(3)
	v_mul_f16_sdwa v11, v45, v13 dst_sel:DWORD dst_unused:UNUSED_PAD src0_sel:WORD_1 src1_sel:DWORD
	v_fmac_f16_e32 v2, v46, v12
	s_waitcnt vmcnt(2)
	v_lshrrev_b32_e32 v12, 16, v3
	s_waitcnt vmcnt(1)
	v_lshrrev_b32_e32 v20, 16, v4
	v_fma_f16 v10, v46, v10, -v19
	v_mul_f16_sdwa v19, v45, v9 dst_sel:DWORD dst_unused:UNUSED_PAD src0_sel:WORD_1 src1_sel:DWORD
	v_fma_f16 v9, v45, v9, -v11
	v_mul_f16_sdwa v11, v44, v3 dst_sel:DWORD dst_unused:UNUSED_PAD src0_sel:WORD_1 src1_sel:DWORD
	v_mul_f16_sdwa v21, v44, v12 dst_sel:DWORD dst_unused:UNUSED_PAD src0_sel:WORD_1 src1_sel:DWORD
	s_waitcnt vmcnt(0)
	v_mul_f16_sdwa v22, v43, v4 dst_sel:DWORD dst_unused:UNUSED_PAD src0_sel:WORD_1 src1_sel:DWORD
	v_mul_f16_sdwa v23, v43, v20 dst_sel:DWORD dst_unused:UNUSED_PAD src0_sel:WORD_1 src1_sel:DWORD
	v_fmac_f16_e32 v19, v45, v13
	v_fma_f16 v11, v44, v12, -v11
	v_fmac_f16_e32 v21, v44, v3
	v_fma_f16 v3, v43, v20, -v22
	v_fmac_f16_e32 v23, v43, v4
	v_pack_b32_f16 v4, v5, v14
	v_pack_b32_f16 v5, v2, v10
	v_add_nc_u32_e32 v2, 0x400, v42
	v_pack_b32_f16 v9, v19, v9
	v_pack_b32_f16 v10, v21, v11
	;; [unrolled: 1-line block ×3, first 2 shown]
	ds_write2_b32 v42, v15, v7 offset1:54
	ds_write_b32 v42, v9 offset:432
	ds_write2_b32 v6, v4, v10 offset0:106 offset1:160
	ds_write2_b32 v2, v5, v3 offset0:158 offset1:212
	s_and_saveexec_b32 s1, vcc_lo
	s_cbranch_execz .LBB0_3
; %bb.2:
	v_add_co_u32 v0, s0, v0, s14
	v_add_co_ci_u32_e64 v1, s0, s15, v1, s0
	v_add_co_u32 v3, s0, v0, s12
	v_add_co_ci_u32_e64 v4, s0, s13, v1, s0
	;; [unrolled: 2-line block ×3, first 2 shown]
	global_load_dword v5, v[16:17], off offset:648
	global_load_dword v9, v[0:1], off
	global_load_dword v3, v[3:4], off
	;; [unrolled: 1-line block ×3, first 2 shown]
	v_add_co_u32 v0, s0, 0x800, v16
	v_add_co_ci_u32_e64 v1, s0, 0, v17, s0
	s_clause 0x1
	global_load_dword v7, v[16:17], off offset:1368
	global_load_dword v0, v[0:1], off offset:40
	s_waitcnt vmcnt(4)
	v_lshrrev_b32_e32 v1, 16, v9
	v_mul_f16_sdwa v8, v5, v9 dst_sel:DWORD dst_unused:UNUSED_PAD src0_sel:WORD_1 src1_sel:DWORD
	s_waitcnt vmcnt(3)
	v_lshrrev_b32_e32 v10, 16, v3
	s_waitcnt vmcnt(2)
	v_lshrrev_b32_e32 v11, 16, v4
	v_mul_f16_sdwa v12, v5, v1 dst_sel:DWORD dst_unused:UNUSED_PAD src0_sel:WORD_1 src1_sel:DWORD
	v_fma_f16 v1, v5, v1, -v8
	s_waitcnt vmcnt(1)
	v_mul_f16_sdwa v8, v7, v3 dst_sel:DWORD dst_unused:UNUSED_PAD src0_sel:WORD_1 src1_sel:DWORD
	v_mul_f16_sdwa v13, v7, v10 dst_sel:DWORD dst_unused:UNUSED_PAD src0_sel:WORD_1 src1_sel:DWORD
	s_waitcnt vmcnt(0)
	v_mul_f16_sdwa v14, v0, v11 dst_sel:DWORD dst_unused:UNUSED_PAD src0_sel:WORD_1 src1_sel:DWORD
	v_mul_f16_sdwa v15, v0, v4 dst_sel:DWORD dst_unused:UNUSED_PAD src0_sel:WORD_1 src1_sel:DWORD
	v_fmac_f16_e32 v12, v5, v9
	v_fma_f16 v5, v7, v10, -v8
	v_fmac_f16_e32 v13, v7, v3
	v_fmac_f16_e32 v14, v0, v4
	v_fma_f16 v0, v0, v11, -v15
	v_pack_b32_f16 v1, v12, v1
	v_pack_b32_f16 v3, v13, v5
	;; [unrolled: 1-line block ×3, first 2 shown]
	ds_write2_b32 v6, v1, v3 offset0:34 offset1:214
	ds_write_b32 v42, v0 offset:2088
.LBB0_3:
	s_or_b32 exec_lo, exec_lo, s1
	s_waitcnt lgkmcnt(0)
	s_barrier
	buffer_gl0_inv
	ds_read2_b32 v[8:9], v42 offset1:54
	ds_read2_b32 v[4:5], v42 offset0:108 offset1:180
	ds_read2_b32 v[2:3], v2 offset0:104 offset1:158
	;; [unrolled: 1-line block ×3, first 2 shown]
	ds_read_b32 v11, v42 offset:1872
                                        ; implicit-def: $vgpr0
                                        ; implicit-def: $vgpr10
	s_and_saveexec_b32 s0, vcc_lo
	s_cbranch_execz .LBB0_5
; %bb.4:
	v_add_nc_u32_e32 v0, 0x200, v42
	ds_read2_b32 v[0:1], v0 offset0:34 offset1:214
	ds_read_b32 v10, v42 offset:2088
.LBB0_5:
	s_or_b32 exec_lo, exec_lo, s0
	s_waitcnt lgkmcnt(3)
	v_pk_add_f16 v14, v8, v5
	s_waitcnt lgkmcnt(2)
	v_pk_add_f16 v15, v5, v2
	v_pk_add_f16 v5, v5, v2 neg_lo:[0,1] neg_hi:[0,1]
	v_mul_lo_u16 v20, v49, 3
	s_waitcnt lgkmcnt(0)
	v_pk_add_f16 v12, v1, v10
	v_pk_add_f16 v13, v1, v10 neg_lo:[0,1] neg_hi:[0,1]
	v_pk_fma_f16 v8, v15, 0.5, v8 op_sel_hi:[1,0,1] neg_lo:[1,0,0] neg_hi:[1,0,0]
	v_pk_mul_f16 v5, 0x3aee, v5 op_sel_hi:[0,1]
	v_and_b32_e32 v22, 0xffff, v20
	v_pk_fma_f16 v12, v12, 0.5, v0 op_sel_hi:[1,0,1] neg_lo:[1,0,0] neg_hi:[1,0,0]
	v_pk_mul_f16 v13, 0x3aee, v13 op_sel_hi:[0,1]
	v_pk_add_f16 v2, v14, v2
	v_pk_add_f16 v23, v8, v5 op_sel:[0,1] op_sel_hi:[1,0]
	v_pk_add_f16 v5, v8, v5 op_sel:[0,1] op_sel_hi:[1,0] neg_lo:[0,1] neg_hi:[0,1]
	v_lshl_add_u32 v58, v22, 2, v53
	v_pk_add_f16 v19, v12, v13 op_sel:[0,1] op_sel_hi:[1,0]
	v_pk_add_f16 v20, v12, v13 op_sel:[0,1] op_sel_hi:[1,0] neg_lo:[0,1] neg_hi:[0,1]
	v_pk_add_f16 v12, v6, v3
	v_bfi_b32 v8, 0xffff, v23, v5
	s_load_dwordx2 s[2:3], s[4:5], 0x8
	v_add_co_u32 v65, null, v49, 54
	s_waitcnt lgkmcnt(0)
	s_barrier
	buffer_gl0_inv
	ds_write2_b32 v58, v2, v8 offset1:1
	v_bfi_b32 v2, 0xffff, v5, v23
	v_pk_add_f16 v5, v6, v3 neg_lo:[0,1] neg_hi:[0,1]
	v_pk_add_f16 v15, v9, v6
	v_pk_add_f16 v21, v4, v7
	v_pk_fma_f16 v8, v12, 0.5, v9 op_sel_hi:[1,0,1] neg_lo:[1,0,0] neg_hi:[1,0,0]
	v_pk_add_f16 v9, v7, v11
	v_pk_add_f16 v7, v7, v11 neg_lo:[0,1] neg_hi:[0,1]
	v_add_co_u32 v41, null, 0x6c, v49
	v_mul_u32_u24_e32 v6, 3, v65
	v_pk_mul_f16 v5, 0x3aee, v5 op_sel_hi:[0,1]
	ds_write_b32 v58, v2 offset:8
	v_pk_fma_f16 v2, v9, 0.5, v4 op_sel_hi:[1,0,1] neg_lo:[1,0,0] neg_hi:[1,0,0]
	v_pk_mul_f16 v4, 0x3aee, v7 op_sel_hi:[0,1]
	v_add_co_u32 v39, s0, 0xa2, v49
	v_lshl_add_u32 v59, v6, 2, v53
	v_pk_add_f16 v6, v8, v5 op_sel:[0,1] op_sel_hi:[1,0]
	v_pk_add_f16 v5, v8, v5 op_sel:[0,1] op_sel_hi:[1,0] neg_lo:[0,1] neg_hi:[0,1]
	v_mul_u32_u24_e32 v7, 3, v41
	v_pk_add_f16 v8, v2, v4 op_sel:[0,1] op_sel_hi:[1,0]
	v_pk_add_f16 v2, v2, v4 op_sel:[0,1] op_sel_hi:[1,0] neg_lo:[0,1] neg_hi:[0,1]
	v_add_co_ci_u32_e64 v40, null, 0, 0, s0
	v_lshrrev_b32_e32 v31, 16, v19
	v_pk_add_f16 v3, v15, v3
	v_bfi_b32 v4, 0xffff, v6, v5
	v_lshl_add_u32 v61, v7, 2, v53
	v_mul_u32_u24_e32 v60, 3, v39
	v_bfi_b32 v5, 0xffff, v5, v6
	v_pk_add_f16 v6, v21, v11
	v_bfi_b32 v7, 0xffff, v8, v2
	v_bfi_b32 v2, 0xffff, v2, v8
	ds_write2_b32 v59, v3, v4 offset1:1
	ds_write_b32 v59, v5 offset:8
	ds_write2_b32 v61, v6, v7 offset1:1
	ds_write_b32 v61, v2 offset:8
	s_and_saveexec_b32 s0, vcc_lo
	s_cbranch_execz .LBB0_7
; %bb.6:
	v_pk_add_f16 v0, v0, v1
	v_lshl_add_u32 v1, v60, 2, v53
	v_bfi_b32 v2, 0xffff, v19, v20
	v_perm_b32 v3, v31, v20, 0x5040100
	v_pk_add_f16 v0, v0, v10
	ds_write_b32 v1, v0
	ds_write2_b32 v1, v2, v3 offset0:1 offset1:2
.LBB0_7:
	s_or_b32 exec_lo, exec_lo, s0
	v_and_b32_e32 v0, 0xff, v49
	s_waitcnt lgkmcnt(0)
	s_barrier
	buffer_gl0_inv
	v_mov_b32_e32 v27, 30
	v_mul_lo_u16 v0, 0xab, v0
	v_cmp_gt_u16_e64 s0, 36, v49
	v_lshrrev_b16 v25, 9, v0
	v_mul_lo_u16 v0, v25, 3
	v_mul_u32_u24_sdwa v25, v25, v27 dst_sel:DWORD dst_unused:UNUSED_PAD src0_sel:WORD_0 src1_sel:DWORD
	v_sub_nc_u16 v0, v49, v0
	v_and_b32_e32 v26, 0xff, v0
	v_mad_u64_u32 v[8:9], null, v26, 36, s[2:3]
	v_add_nc_u32_e32 v25, v25, v26
	s_clause 0x2
	global_load_dwordx4 v[4:7], v[8:9], off
	global_load_dwordx4 v[0:3], v[8:9], off offset:16
	global_load_dword v57, v[8:9], off offset:32
	v_add_nc_u32_e32 v9, 0x200, v42
	v_add_nc_u32_e32 v8, 0x400, v42
	ds_read2_b32 v[10:11], v42 offset1:54
	ds_read2_b32 v[12:13], v42 offset0:108 offset1:162
	v_lshl_add_u32 v56, v25, 2, v53
	ds_read2_b32 v[14:15], v9 offset0:88 offset1:142
	ds_read2_b32 v[21:22], v8 offset0:68 offset1:122
	;; [unrolled: 1-line block ×3, first 2 shown]
	s_waitcnt vmcnt(0) lgkmcnt(0)
	s_barrier
	buffer_gl0_inv
	v_lshrrev_b32_e32 v28, 16, v11
	v_lshrrev_b32_e32 v29, 16, v12
	v_lshrrev_b32_e32 v30, 16, v13
	v_lshrrev_b32_e32 v32, 16, v14
	v_lshrrev_b32_e32 v33, 16, v15
	v_lshrrev_b32_e32 v26, 16, v21
	v_lshrrev_b32_e32 v34, 16, v22
	v_lshrrev_b32_e32 v35, 16, v23
	v_lshrrev_b32_e32 v36, 16, v24
	v_lshrrev_b32_e32 v27, 16, v10
	v_mul_f16_sdwa v25, v28, v4 dst_sel:DWORD dst_unused:UNUSED_PAD src0_sel:DWORD src1_sel:WORD_1
	v_mul_f16_sdwa v54, v11, v4 dst_sel:DWORD dst_unused:UNUSED_PAD src0_sel:DWORD src1_sel:WORD_1
	;; [unrolled: 1-line block ×18, first 2 shown]
	v_fma_f16 v11, v11, v4, -v25
	v_fmac_f16_e32 v54, v28, v4
	v_fma_f16 v12, v12, v5, -v55
	v_fmac_f16_e32 v62, v29, v5
	;; [unrolled: 2-line block ×9, first 2 shown]
	v_add_f16_e32 v25, v10, v12
	v_add_f16_e32 v26, v14, v21
	v_sub_f16_e32 v30, v12, v14
	v_sub_f16_e32 v32, v23, v21
	v_add_f16_e32 v33, v12, v23
	v_sub_f16_e32 v34, v14, v12
	v_sub_f16_e32 v35, v21, v23
	v_add_f16_e32 v36, v27, v62
	v_add_f16_e32 v55, v67, v71
	v_sub_f16_e32 v66, v62, v67
	v_sub_f16_e32 v68, v75, v71
	v_add_f16_e32 v74, v11, v13
	v_add_f16_e32 v76, v15, v22
	;; [unrolled: 1-line block ×6, first 2 shown]
	v_sub_f16_e32 v28, v62, v75
	v_sub_f16_e32 v29, v67, v71
	;; [unrolled: 1-line block ×3, first 2 shown]
	v_add_f16_e32 v70, v62, v75
	v_sub_f16_e32 v62, v67, v62
	v_sub_f16_e32 v78, v64, v77
	v_sub_f16_e32 v80, v13, v15
	v_sub_f16_e32 v83, v15, v13
	v_sub_f16_e32 v13, v13, v24
	v_sub_f16_e32 v87, v15, v22
	v_add_f16_e32 v14, v25, v14
	v_add_f16_e32 v25, v30, v32
	v_fma_f16 v26, -0.5, v26, v10
	v_fmac_f16_e32 v10, -0.5, v33
	v_add_f16_e32 v30, v34, v35
	v_add_f16_e32 v32, v36, v67
	;; [unrolled: 1-line block ×3, first 2 shown]
	v_fma_f16 v35, -0.5, v55, v27
	v_add_f16_e32 v15, v74, v15
	v_fma_f16 v55, -0.5, v76, v11
	v_add_f16_e32 v66, v85, v69
	v_fma_f16 v67, -0.5, v86, v54
	v_sub_f16_e32 v72, v71, v75
	v_sub_f16_e32 v79, v69, v73
	v_fmac_f16_e32 v11, -0.5, v82
	v_fmac_f16_e32 v54, -0.5, v90
	v_sub_f16_e32 v81, v24, v22
	v_sub_f16_e32 v84, v22, v24
	;; [unrolled: 1-line block ×5, first 2 shown]
	v_fmac_f16_e32 v27, -0.5, v70
	v_add_f16_e32 v15, v15, v22
	v_fmamk_f16 v22, v78, 0x3b9c, v55
	v_add_f16_e32 v66, v66, v73
	v_fmamk_f16 v73, v13, 0xbb9c, v67
	v_sub_f16_e32 v64, v69, v64
	v_add_f16_e32 v34, v62, v72
	v_fmamk_f16 v72, v79, 0xbb9c, v11
	v_fmac_f16_e32 v11, 0x3b9c, v79
	v_fmamk_f16 v74, v87, 0x3b9c, v54
	v_fmac_f16_e32 v54, 0xbb9c, v87
	v_sub_f16_e32 v12, v12, v23
	v_fmac_f16_e32 v55, 0xbb9c, v78
	v_fmac_f16_e32 v67, 0x3b9c, v13
	v_add_f16_e32 v36, v80, v81
	v_add_f16_e32 v68, v88, v89
	;; [unrolled: 1-line block ×4, first 2 shown]
	v_fmamk_f16 v71, v63, 0x3b9c, v27
	v_fmac_f16_e32 v27, 0xbb9c, v63
	v_fmac_f16_e32 v22, 0x38b4, v79
	;; [unrolled: 1-line block ×3, first 2 shown]
	v_add_f16_e32 v62, v83, v84
	v_add_f16_e32 v64, v64, v91
	v_fmamk_f16 v21, v28, 0x3b9c, v26
	v_fmac_f16_e32 v26, 0xbb9c, v28
	v_fmamk_f16 v69, v29, 0xbb9c, v10
	v_fmac_f16_e32 v10, 0x3b9c, v29
	v_fmac_f16_e32 v72, 0x38b4, v78
	;; [unrolled: 1-line block ×5, first 2 shown]
	v_fmamk_f16 v70, v12, 0xbb9c, v35
	v_fmac_f16_e32 v35, 0x3b9c, v12
	v_fmac_f16_e32 v55, 0xb8b4, v79
	;; [unrolled: 1-line block ×3, first 2 shown]
	v_add_f16_e32 v14, v14, v23
	v_add_f16_e32 v23, v32, v75
	v_fmac_f16_e32 v71, 0xb8b4, v12
	v_fmac_f16_e32 v27, 0x38b4, v12
	v_add_f16_e32 v12, v15, v24
	v_add_f16_e32 v15, v66, v77
	v_fmac_f16_e32 v22, 0x34f2, v36
	v_fmac_f16_e32 v73, 0x34f2, v68
	;; [unrolled: 1-line block ×14, first 2 shown]
	v_add_f16_e32 v13, v14, v12
	v_add_f16_e32 v24, v23, v15
	v_sub_f16_e32 v12, v14, v12
	v_sub_f16_e32 v14, v23, v15
	v_mul_f16_e32 v15, 0x38b4, v73
	v_mul_f16_e32 v29, 0xb8b4, v22
	v_fmac_f16_e32 v21, 0x34f2, v25
	v_fmac_f16_e32 v26, 0x34f2, v25
	;; [unrolled: 1-line block ×4, first 2 shown]
	v_mul_f16_e32 v23, 0x3b9c, v74
	v_mul_f16_e32 v25, 0x34f2, v11
	;; [unrolled: 1-line block ×4, first 2 shown]
	v_fmac_f16_e32 v70, 0x34f2, v33
	v_fmac_f16_e32 v35, 0x34f2, v33
	v_mul_f16_e32 v28, 0x3a79, v55
	v_mul_f16_e32 v33, 0x3a79, v67
	v_fmac_f16_e32 v15, 0x3a79, v22
	v_fmac_f16_e32 v29, 0x3a79, v73
	v_fmac_f16_e32 v71, 0x34f2, v34
	v_fmac_f16_e32 v27, 0x34f2, v34
	v_pack_b32_f16 v12, v12, v14
	v_fmac_f16_e32 v23, 0x34f2, v72
	v_fma_f16 v14, v54, 0x3b9c, -v25
	v_fmac_f16_e32 v30, 0x34f2, v74
	v_fma_f16 v11, v11, 0xbb9c, -v32
	v_pack_b32_f16 v13, v13, v24
	v_fma_f16 v24, v67, 0x38b4, -v28
	v_fma_f16 v28, v55, 0xb8b4, -v33
	v_add_f16_e32 v36, v21, v15
	v_add_f16_e32 v63, v70, v29
	;; [unrolled: 1-line block ×8, first 2 shown]
	v_sub_f16_e32 v21, v21, v15
	v_sub_f16_e32 v22, v69, v23
	;; [unrolled: 1-line block ×8, first 2 shown]
	v_pack_b32_f16 v10, v36, v63
	v_pack_b32_f16 v11, v54, v64
	;; [unrolled: 1-line block ×8, first 2 shown]
	ds_write2_b32 v56, v13, v10 offset1:3
	ds_write2_b32 v56, v11, v14 offset0:6 offset1:9
	ds_write2_b32 v56, v15, v12 offset0:12 offset1:15
	;; [unrolled: 1-line block ×4, first 2 shown]
	s_waitcnt lgkmcnt(0)
	s_barrier
	buffer_gl0_inv
	ds_read2_b32 v[23:24], v42 offset1:90
	ds_read2_b32 v[29:30], v9 offset0:52 offset1:142
	ds_read2_b32 v[27:28], v8 offset0:104 offset1:194
	v_lshrrev_b32_e32 v36, 16, v20
	s_and_saveexec_b32 s1, s0
	s_cbranch_execz .LBB0_9
; %bb.8:
	ds_read2_b32 v[21:22], v42 offset0:54 offset1:144
	ds_read2_b32 v[25:26], v9 offset0:106 offset1:196
	;; [unrolled: 1-line block ×3, first 2 shown]
	s_waitcnt lgkmcnt(2)
	v_lshrrev_b32_e32 v32, 16, v21
	v_lshrrev_b32_e32 v33, 16, v22
	s_waitcnt lgkmcnt(1)
	v_lshrrev_b32_e32 v34, 16, v25
	v_lshrrev_b32_e32 v35, 16, v26
	;; [unrolled: 3-line block ×3, first 2 shown]
.LBB0_9:
	s_or_b32 exec_lo, exec_lo, s1
	v_subrev_nc_u32_e32 v8, 30, v49
	v_cmp_gt_u16_e64 s1, 30, v49
	v_and_b32_e32 v14, 0xff, v65
	s_waitcnt lgkmcnt(2)
	v_lshrrev_b32_e32 v68, 16, v24
	s_waitcnt lgkmcnt(1)
	v_lshrrev_b32_e32 v69, 16, v30
	;; [unrolled: 2-line block ×3, first 2 shown]
	v_cndmask_b32_e64 v66, v8, v49, s1
	v_mul_lo_u16 v14, 0x89, v14
	v_lshrrev_b32_e32 v71, 16, v28
	v_lshrrev_b32_e32 v67, 16, v23
	v_mul_i32_i24_e32 v8, 20, v66
	v_mul_hi_i32_i24_e32 v9, 20, v66
	v_lshrrev_b16 v55, 12, v14
	v_add_co_u32 v12, s1, s2, v8
	v_add_co_ci_u32_e64 v13, s1, s3, v9, s1
	v_cmp_lt_u16_e64 s1, 29, v49
	s_clause 0x1
	global_load_dwordx4 v[8:11], v[12:13], off offset:108
	global_load_dword v64, v[12:13], off offset:124
	v_mul_lo_u16 v12, v55, 30
	v_sub_nc_u16 v12, v65, v12
	v_and_b32_e32 v54, 0xff, v12
	v_mad_u64_u32 v[62:63], null, v54, 20, s[2:3]
	s_clause 0x1
	global_load_dwordx4 v[12:15], v[62:63], off offset:108
	global_load_dword v63, v[62:63], off offset:124
	v_cndmask_b32_e64 v62, 0, 0xb4, s1
	s_waitcnt vmcnt(0)
	s_barrier
	buffer_gl0_inv
	v_add_nc_u32_e32 v62, v66, v62
	v_lshrrev_b32_e32 v66, 16, v29
	v_lshl_add_u32 v62, v62, 2, v53
	v_mul_f16_sdwa v72, v68, v8 dst_sel:DWORD dst_unused:UNUSED_PAD src0_sel:DWORD src1_sel:WORD_1
	v_mul_f16_sdwa v73, v24, v8 dst_sel:DWORD dst_unused:UNUSED_PAD src0_sel:DWORD src1_sel:WORD_1
	;; [unrolled: 1-line block ×10, first 2 shown]
	v_fma_f16 v24, v24, v8, -v72
	v_fmac_f16_e32 v73, v68, v8
	v_fma_f16 v29, v29, v9, -v74
	v_fmac_f16_e32 v75, v66, v9
	;; [unrolled: 2-line block ×5, first 2 shown]
	v_add_f16_e32 v66, v23, v29
	v_add_f16_e32 v68, v29, v27
	v_sub_f16_e32 v69, v75, v79
	v_add_f16_e32 v70, v67, v75
	v_add_f16_e32 v71, v75, v79
	;; [unrolled: 1-line block ×4, first 2 shown]
	v_sub_f16_e32 v75, v77, v81
	v_add_f16_e32 v76, v73, v77
	v_add_f16_e32 v77, v77, v81
	v_sub_f16_e32 v29, v29, v27
	v_sub_f16_e32 v30, v30, v28
	v_add_f16_e32 v27, v66, v27
	v_fmac_f16_e32 v23, -0.5, v68
	v_add_f16_e32 v66, v70, v79
	v_fmac_f16_e32 v67, -0.5, v71
	;; [unrolled: 2-line block ×4, first 2 shown]
	v_mul_f16_sdwa v70, v33, v12 dst_sel:DWORD dst_unused:UNUSED_PAD src0_sel:DWORD src1_sel:WORD_1
	v_mul_f16_sdwa v71, v22, v12 dst_sel:DWORD dst_unused:UNUSED_PAD src0_sel:DWORD src1_sel:WORD_1
	;; [unrolled: 1-line block ×10, first 2 shown]
	v_fmamk_f16 v82, v69, 0x3aee, v23
	v_fmac_f16_e32 v23, 0xbaee, v69
	v_fmamk_f16 v69, v29, 0xbaee, v67
	v_fmac_f16_e32 v67, 0x3aee, v29
	;; [unrolled: 2-line block ×4, first 2 shown]
	v_add_f16_e32 v30, v27, v28
	v_add_f16_e32 v83, v66, v68
	v_sub_f16_e32 v27, v27, v28
	v_sub_f16_e32 v28, v66, v68
	v_fma_f16 v68, v22, v12, -v70
	v_fmac_f16_e32 v71, v33, v12
	v_fma_f16 v22, v25, v13, -v72
	v_fmac_f16_e32 v74, v34, v13
	;; [unrolled: 2-line block ×3, first 2 shown]
	v_fmac_f16_e32 v79, v36, v15
	v_fma_f16 v26, v20, v63, -v80
	v_fmac_f16_e32 v81, v31, v63
	v_fma_f16 v19, v19, v15, -v78
	v_mul_f16_e32 v31, 0x3aee, v75
	v_mul_f16_e32 v33, -0.5, v24
	v_mul_f16_e32 v34, 0xbaee, v29
	v_mul_f16_e32 v35, -0.5, v73
	v_pack_b32_f16 v36, v30, v83
	v_pack_b32_f16 v70, v27, v28
	v_sub_f16_e32 v28, v74, v79
	v_add_f16_e32 v30, v32, v74
	v_add_f16_e32 v66, v74, v79
	;; [unrolled: 1-line block ×3, first 2 shown]
	v_sub_f16_e32 v76, v77, v81
	v_add_f16_e32 v78, v71, v77
	v_add_f16_e32 v77, v77, v81
	v_add_f16_e32 v20, v21, v22
	v_add_f16_e32 v27, v22, v19
	v_sub_f16_e32 v72, v22, v19
	v_add_f16_e32 v22, v68, v25
	v_sub_f16_e32 v80, v25, v26
	v_fmac_f16_e32 v31, 0.5, v29
	v_fmac_f16_e32 v33, 0x3aee, v73
	v_fmac_f16_e32 v34, 0.5, v75
	v_fmac_f16_e32 v35, 0xbaee, v24
	v_fmac_f16_e32 v68, -0.5, v74
	v_fmac_f16_e32 v71, -0.5, v77
	v_add_f16_e32 v19, v20, v19
	v_fmac_f16_e32 v21, -0.5, v27
	v_add_f16_e32 v20, v30, v79
	;; [unrolled: 2-line block ×3, first 2 shown]
	v_add_f16_e32 v26, v82, v31
	v_add_f16_e32 v27, v23, v33
	;; [unrolled: 1-line block ×4, first 2 shown]
	v_sub_f16_e32 v34, v69, v34
	v_sub_f16_e32 v35, v67, v35
	v_fmamk_f16 v67, v76, 0x3aee, v68
	v_fmac_f16_e32 v68, 0xbaee, v76
	v_fmamk_f16 v69, v80, 0xbaee, v71
	v_fmac_f16_e32 v71, 0x3aee, v80
	v_sub_f16_e32 v74, v82, v31
	v_sub_f16_e32 v33, v23, v33
	v_fmamk_f16 v23, v28, 0x3aee, v21
	v_fmac_f16_e32 v21, 0xbaee, v28
	v_fmamk_f16 v25, v72, 0xbaee, v32
	v_fmac_f16_e32 v32, 0x3aee, v72
	v_pack_b32_f16 v72, v26, v30
	v_pack_b32_f16 v73, v27, v73
	v_mul_f16_e32 v26, 0x3aee, v69
	v_mul_f16_e32 v27, -0.5, v68
	v_mul_f16_e32 v28, 0xbaee, v67
	v_mul_f16_e32 v31, -0.5, v71
	v_add_f16_e32 v24, v78, v81
	v_fmac_f16_e32 v26, 0.5, v67
	v_fmac_f16_e32 v27, 0x3aee, v71
	v_fmac_f16_e32 v28, 0.5, v69
	v_fmac_f16_e32 v31, 0xbaee, v68
	v_sub_f16_e32 v29, v19, v22
	v_sub_f16_e32 v66, v20, v24
	v_sub_f16_e32 v30, v23, v26
	v_sub_f16_e32 v67, v21, v27
	v_sub_f16_e32 v68, v25, v28
	v_sub_f16_e32 v69, v32, v31
	v_pack_b32_f16 v34, v74, v34
	v_pack_b32_f16 v33, v33, v35
	ds_write2_b32 v62, v36, v72 offset1:30
	ds_write2_b32 v62, v73, v70 offset0:60 offset1:90
	ds_write2_b32 v62, v34, v33 offset0:120 offset1:150
	s_and_saveexec_b32 s1, s0
	s_cbranch_execz .LBB0_11
; %bb.10:
	v_mov_b32_e32 v33, 0xb4
	v_add_f16_e32 v25, v25, v28
	v_add_f16_e32 v20, v20, v24
	v_add_f16_e32 v19, v19, v22
	v_add_f16_e32 v22, v23, v26
	v_mul_u32_u24_sdwa v28, v55, v33 dst_sel:DWORD dst_unused:UNUSED_PAD src0_sel:WORD_0 src1_sel:DWORD
	v_add_f16_e32 v31, v32, v31
	v_add_f16_e32 v21, v21, v27
	v_pack_b32_f16 v19, v19, v20
	v_pack_b32_f16 v20, v22, v25
	v_add_nc_u32_e32 v23, v28, v54
	v_perm_b32 v24, v66, v29, 0x5040100
	v_pack_b32_f16 v21, v21, v31
	v_perm_b32 v26, v68, v30, 0x5040100
	v_lshl_add_u32 v22, v23, 2, v53
	v_perm_b32 v23, v69, v67, 0x5040100
	ds_write2_b32 v22, v19, v20 offset1:30
	ds_write2_b32 v22, v21, v24 offset0:60 offset1:90
	ds_write2_b32 v22, v26, v23 offset0:120 offset1:150
.LBB0_11:
	s_or_b32 exec_lo, exec_lo, s1
	v_add_nc_u32_e32 v22, 0x400, v42
	v_add_nc_u32_e32 v21, 0x200, v42
	s_waitcnt lgkmcnt(0)
	s_barrier
	buffer_gl0_inv
	ds_read2_b32 v[31:32], v42 offset1:54
	ds_read2_b32 v[19:20], v42 offset0:108 offset1:180
	ds_read2_b32 v[35:36], v22 offset0:104 offset1:158
	;; [unrolled: 1-line block ×3, first 2 shown]
	ds_read_b32 v70, v42 offset:1872
	s_and_saveexec_b32 s1, vcc_lo
	s_cbranch_execz .LBB0_13
; %bb.12:
	ds_read2_b32 v[29:30], v21 offset0:34 offset1:214
	ds_read_b32 v67, v42 offset:2088
	s_waitcnt lgkmcnt(1)
	v_lshrrev_b32_e32 v66, 16, v29
	v_lshrrev_b32_e32 v68, 16, v30
	s_waitcnt lgkmcnt(0)
	v_lshrrev_b32_e32 v69, 16, v67
.LBB0_13:
	s_or_b32 exec_lo, exec_lo, s1
	v_lshlrev_b32_e32 v21, 3, v49
	v_lshlrev_b32_e32 v22, 3, v65
	s_waitcnt lgkmcnt(1)
	v_lshrrev_b32_e32 v72, 16, v33
	v_lshl_add_u32 v65, v38, 2, v37
	v_lshrrev_b32_e32 v37, 16, v36
	global_load_dwordx2 v[27:28], v21, s[2:3] offset:708
	v_lshlrev_b32_e32 v21, 3, v41
	v_lshrrev_b32_e32 v41, 16, v35
	v_lshrrev_b32_e32 v73, 16, v34
	s_clause 0x1
	global_load_dwordx2 v[25:26], v22, s[2:3] offset:708
	global_load_dwordx2 v[23:24], v21, s[2:3] offset:708
	v_add_co_u32 v21, s1, 0xffffffee, v49
	v_add_co_ci_u32_e64 v22, null, 0, -1, s1
	s_waitcnt lgkmcnt(0)
	v_lshrrev_b32_e32 v74, 16, v70
	v_cndmask_b32_e32 v21, v21, v39, vcc_lo
	v_lshrrev_b32_e32 v39, 16, v31
	v_cndmask_b32_e32 v22, v22, v40, vcc_lo
	v_lshrrev_b32_e32 v40, 16, v20
	v_lshrrev_b32_e32 v71, 16, v32
	;; [unrolled: 1-line block ×3, first 2 shown]
	v_add_nc_u32_e32 v75, 0x400, v65
	v_lshlrev_b64 v[21:22], 3, v[21:22]
	v_add_co_u32 v21, s1, s2, v21
	v_add_co_ci_u32_e64 v22, s1, s3, v22, s1
	global_load_dwordx2 v[21:22], v[21:22], off offset:708
	s_waitcnt vmcnt(3)
	v_mul_f16_sdwa v76, v40, v27 dst_sel:DWORD dst_unused:UNUSED_PAD src0_sel:DWORD src1_sel:WORD_1
	v_mul_f16_sdwa v77, v20, v27 dst_sel:DWORD dst_unused:UNUSED_PAD src0_sel:DWORD src1_sel:WORD_1
	v_mul_f16_sdwa v78, v41, v28 dst_sel:DWORD dst_unused:UNUSED_PAD src0_sel:DWORD src1_sel:WORD_1
	v_mul_f16_sdwa v79, v35, v28 dst_sel:DWORD dst_unused:UNUSED_PAD src0_sel:DWORD src1_sel:WORD_1
	s_waitcnt vmcnt(2)
	v_mul_f16_sdwa v80, v72, v25 dst_sel:DWORD dst_unused:UNUSED_PAD src0_sel:DWORD src1_sel:WORD_1
	v_mul_f16_sdwa v81, v33, v25 dst_sel:DWORD dst_unused:UNUSED_PAD src0_sel:DWORD src1_sel:WORD_1
	v_mul_f16_sdwa v82, v37, v26 dst_sel:DWORD dst_unused:UNUSED_PAD src0_sel:DWORD src1_sel:WORD_1
	v_mul_f16_sdwa v83, v36, v26 dst_sel:DWORD dst_unused:UNUSED_PAD src0_sel:DWORD src1_sel:WORD_1
	;; [unrolled: 5-line block ×3, first 2 shown]
	v_fma_f16 v20, v20, v27, -v76
	v_fmac_f16_e32 v77, v40, v27
	v_fma_f16 v35, v35, v28, -v78
	v_fmac_f16_e32 v79, v41, v28
	v_fma_f16 v33, v33, v25, -v80
	v_fmac_f16_e32 v81, v72, v25
	v_fma_f16 v36, v36, v26, -v82
	v_fmac_f16_e32 v83, v37, v26
	v_fma_f16 v34, v34, v23, -v84
	v_fmac_f16_e32 v85, v73, v23
	v_fma_f16 v37, v70, v24, -v86
	v_fmac_f16_e32 v87, v74, v24
	v_add_f16_e32 v40, v31, v20
	v_add_f16_e32 v41, v20, v35
	v_sub_f16_e32 v70, v77, v79
	v_add_f16_e32 v72, v39, v77
	v_add_f16_e32 v73, v77, v79
	v_add_f16_e32 v74, v32, v33
	v_add_f16_e32 v76, v33, v36
	v_sub_f16_e32 v77, v81, v83
	v_add_f16_e32 v78, v71, v81
	v_add_f16_e32 v80, v81, v83
	;; [unrolled: 5-line block ×3, first 2 shown]
	v_sub_f16_e32 v20, v20, v35
	v_sub_f16_e32 v33, v33, v36
	;; [unrolled: 1-line block ×3, first 2 shown]
	v_add_f16_e32 v35, v40, v35
	v_fma_f16 v31, -0.5, v41, v31
	v_add_f16_e32 v40, v72, v79
	v_fmac_f16_e32 v39, -0.5, v73
	v_add_f16_e32 v36, v74, v36
	v_fmac_f16_e32 v32, -0.5, v76
	;; [unrolled: 2-line block ×5, first 2 shown]
	s_waitcnt vmcnt(0)
	v_mul_f16_sdwa v73, v68, v21 dst_sel:DWORD dst_unused:UNUSED_PAD src0_sel:DWORD src1_sel:WORD_1
	v_mul_f16_sdwa v74, v30, v21 dst_sel:DWORD dst_unused:UNUSED_PAD src0_sel:DWORD src1_sel:WORD_1
	v_mul_f16_sdwa v76, v69, v22 dst_sel:DWORD dst_unused:UNUSED_PAD src0_sel:DWORD src1_sel:WORD_1
	v_mul_f16_sdwa v78, v67, v22 dst_sel:DWORD dst_unused:UNUSED_PAD src0_sel:DWORD src1_sel:WORD_1
	v_fmamk_f16 v79, v70, 0x3aee, v31
	v_fmac_f16_e32 v31, 0xbaee, v70
	v_fmamk_f16 v70, v20, 0xbaee, v39
	v_fmac_f16_e32 v39, 0x3aee, v20
	;; [unrolled: 2-line block ×4, first 2 shown]
	v_fmamk_f16 v33, v84, 0x3aee, v19
	v_fmamk_f16 v80, v34, 0xbaee, v38
	v_fmac_f16_e32 v38, 0x3aee, v34
	v_pack_b32_f16 v34, v35, v40
	v_pack_b32_f16 v35, v36, v41
	;; [unrolled: 1-line block ×3, first 2 shown]
	v_fma_f16 v30, v30, v21, -v73
	v_fmac_f16_e32 v74, v68, v21
	v_fma_f16 v37, v67, v22, -v76
	v_fmac_f16_e32 v78, v69, v22
	v_fmac_f16_e32 v19, 0xbaee, v84
	v_pack_b32_f16 v41, v33, v80
	v_pack_b32_f16 v31, v31, v39
	v_add_f16_e32 v33, v30, v37
	v_add_f16_e32 v68, v74, v78
	v_pack_b32_f16 v39, v32, v71
	v_pack_b32_f16 v19, v19, v38
	v_add_f16_e32 v32, v29, v30
	v_sub_f16_e32 v38, v74, v78
	v_add_f16_e32 v67, v66, v74
	v_sub_f16_e32 v30, v30, v37
	v_fmac_f16_e32 v29, -0.5, v33
	v_fmac_f16_e32 v66, -0.5, v68
	v_pack_b32_f16 v40, v79, v70
	v_add_f16_e32 v32, v32, v37
	v_add_f16_e32 v67, v67, v78
	v_fmamk_f16 v33, v38, 0x3aee, v29
	v_fmac_f16_e32 v29, 0xbaee, v38
	v_fmamk_f16 v68, v30, 0xbaee, v66
	v_fmac_f16_e32 v66, 0x3aee, v30
	v_pack_b32_f16 v20, v20, v77
	ds_write_b32 v42, v40 offset:720
	ds_write_b32 v42, v31 offset:1440
	ds_write2_b32 v42, v34, v35 offset1:54
	ds_write_b32 v42, v20 offset:936
	ds_write_b32 v42, v39 offset:1656
	;; [unrolled: 1-line block ×3, first 2 shown]
	ds_write2_b32 v75, v41, v19 offset0:32 offset1:212
	s_and_saveexec_b32 s1, vcc_lo
	s_cbranch_execz .LBB0_15
; %bb.14:
	v_perm_b32 v19, v67, v32, 0x5040100
	v_perm_b32 v20, v68, v33, 0x5040100
	v_add_nc_u32_e32 v30, 0x200, v42
	v_perm_b32 v31, v66, v29, 0x5040100
	ds_write2_b32 v30, v19, v20 offset0:34 offset1:214
	ds_write_b32 v42, v31 offset:2088
.LBB0_15:
	s_or_b32 exec_lo, exec_lo, s1
	v_add_co_u32 v19, s1, 0x800, v16
	v_add_co_ci_u32_e64 v20, s1, 0, v17, s1
	v_add_co_u32 v30, s1, 0x870, v16
	v_add_co_ci_u32_e64 v31, s1, 0, v17, s1
	s_waitcnt lgkmcnt(0)
	s_barrier
	buffer_gl0_inv
	s_clause 0x8
	global_load_dword v39, v[19:20], off offset:112
	global_load_dword v41, v[30:31], off offset:720
	;; [unrolled: 1-line block ×9, first 2 shown]
	v_add_nc_u32_e32 v34, 0x400, v42
	v_add_nc_u32_e32 v40, 0x200, v42
	ds_read2_b32 v[35:36], v42 offset1:54
	ds_read2_b32 v[37:38], v42 offset0:108 offset1:180
	ds_read_b32 v80, v42 offset:1872
	ds_read2_b32 v[69:70], v34 offset0:104 offset1:158
	ds_read2_b32 v[71:72], v40 offset0:106 offset1:160
	s_waitcnt lgkmcnt(4)
	v_lshrrev_b32_e32 v81, 16, v35
	v_lshrrev_b32_e32 v83, 16, v36
	s_waitcnt lgkmcnt(1)
	v_lshrrev_b32_e32 v86, 16, v69
	v_lshrrev_b32_e32 v88, 16, v70
	;; [unrolled: 1-line block ×4, first 2 shown]
	s_waitcnt lgkmcnt(0)
	v_lshrrev_b32_e32 v87, 16, v71
	v_lshrrev_b32_e32 v89, 16, v72
	;; [unrolled: 1-line block ×3, first 2 shown]
	s_waitcnt vmcnt(8)
	v_mul_f16_sdwa v90, v81, v39 dst_sel:DWORD dst_unused:UNUSED_PAD src0_sel:DWORD src1_sel:WORD_1
	v_mul_f16_sdwa v91, v35, v39 dst_sel:DWORD dst_unused:UNUSED_PAD src0_sel:DWORD src1_sel:WORD_1
	s_waitcnt vmcnt(6)
	v_mul_f16_sdwa v94, v86, v73 dst_sel:DWORD dst_unused:UNUSED_PAD src0_sel:DWORD src1_sel:WORD_1
	s_waitcnt vmcnt(5)
	v_mul_f16_sdwa v96, v83, v74 dst_sel:DWORD dst_unused:UNUSED_PAD src0_sel:DWORD src1_sel:WORD_1
	v_mul_f16_sdwa v97, v36, v74 dst_sel:DWORD dst_unused:UNUSED_PAD src0_sel:DWORD src1_sel:WORD_1
	v_mul_f16_sdwa v95, v69, v73 dst_sel:DWORD dst_unused:UNUSED_PAD src0_sel:DWORD src1_sel:WORD_1
	s_waitcnt vmcnt(3)
	v_mul_f16_sdwa v100, v88, v76 dst_sel:DWORD dst_unused:UNUSED_PAD src0_sel:DWORD src1_sel:WORD_1
	v_mul_f16_sdwa v101, v70, v76 dst_sel:DWORD dst_unused:UNUSED_PAD src0_sel:DWORD src1_sel:WORD_1
	v_mul_f16_sdwa v92, v82, v41 dst_sel:DWORD dst_unused:UNUSED_PAD src0_sel:DWORD src1_sel:WORD_1
	v_mul_f16_sdwa v93, v38, v41 dst_sel:DWORD dst_unused:UNUSED_PAD src0_sel:DWORD src1_sel:WORD_1
	s_waitcnt vmcnt(2)
	v_mul_f16_sdwa v102, v84, v77 dst_sel:DWORD dst_unused:UNUSED_PAD src0_sel:DWORD src1_sel:WORD_1
	;; [unrolled: 5-line block ×3, first 2 shown]
	v_mul_f16_sdwa v105, v72, v78 dst_sel:DWORD dst_unused:UNUSED_PAD src0_sel:DWORD src1_sel:WORD_1
	s_waitcnt vmcnt(0)
	v_mul_f16_sdwa v106, v85, v79 dst_sel:DWORD dst_unused:UNUSED_PAD src0_sel:DWORD src1_sel:WORD_1
	v_mul_f16_sdwa v107, v80, v79 dst_sel:DWORD dst_unused:UNUSED_PAD src0_sel:DWORD src1_sel:WORD_1
	v_fma_f16 v35, v35, v39, -v90
	v_fmac_f16_e32 v91, v81, v39
	v_fma_f16 v36, v36, v74, -v96
	v_fmac_f16_e32 v97, v83, v74
	;; [unrolled: 2-line block ×9, first 2 shown]
	v_pack_b32_f16 v35, v35, v91
	v_pack_b32_f16 v36, v36, v97
	;; [unrolled: 1-line block ×9, first 2 shown]
	ds_write2_b32 v42, v35, v36 offset1:54
	ds_write2_b32 v34, v39, v69 offset0:104 offset1:158
	ds_write2_b32 v42, v37, v38 offset0:108 offset1:180
	;; [unrolled: 1-line block ×3, first 2 shown]
	ds_write_b32 v42, v71 offset:1872
	s_and_saveexec_b32 s2, vcc_lo
	s_cbranch_execz .LBB0_17
; %bb.16:
	v_add_co_u32 v35, s1, 0x800, v30
	global_load_dword v37, v[30:31], off offset:648
	v_add_co_ci_u32_e64 v36, s1, 0, v31, s1
	s_clause 0x1
	global_load_dword v38, v[30:31], off offset:1368
	global_load_dword v35, v[35:36], off offset:40
	ds_read2_b32 v[30:31], v40 offset0:34 offset1:214
	ds_read_b32 v36, v42 offset:2088
	s_waitcnt lgkmcnt(1)
	v_lshrrev_b32_e32 v39, 16, v30
	v_lshrrev_b32_e32 v41, 16, v31
	s_waitcnt lgkmcnt(0)
	v_lshrrev_b32_e32 v70, 16, v36
	s_waitcnt vmcnt(2)
	v_mul_f16_sdwa v69, v39, v37 dst_sel:DWORD dst_unused:UNUSED_PAD src0_sel:DWORD src1_sel:WORD_1
	v_mul_f16_sdwa v71, v30, v37 dst_sel:DWORD dst_unused:UNUSED_PAD src0_sel:DWORD src1_sel:WORD_1
	s_waitcnt vmcnt(1)
	v_mul_f16_sdwa v72, v41, v38 dst_sel:DWORD dst_unused:UNUSED_PAD src0_sel:DWORD src1_sel:WORD_1
	v_mul_f16_sdwa v73, v31, v38 dst_sel:DWORD dst_unused:UNUSED_PAD src0_sel:DWORD src1_sel:WORD_1
	v_fma_f16 v30, v30, v37, -v69
	s_waitcnt vmcnt(0)
	v_mul_f16_sdwa v69, v70, v35 dst_sel:DWORD dst_unused:UNUSED_PAD src0_sel:DWORD src1_sel:WORD_1
	v_mul_f16_sdwa v74, v36, v35 dst_sel:DWORD dst_unused:UNUSED_PAD src0_sel:DWORD src1_sel:WORD_1
	v_fmac_f16_e32 v71, v39, v37
	v_fma_f16 v31, v31, v38, -v72
	v_fmac_f16_e32 v73, v41, v38
	v_fma_f16 v36, v36, v35, -v69
	v_fmac_f16_e32 v74, v70, v35
	v_pack_b32_f16 v30, v30, v71
	v_pack_b32_f16 v31, v31, v73
	;; [unrolled: 1-line block ×3, first 2 shown]
	ds_write2_b32 v40, v30, v31 offset0:34 offset1:214
	ds_write_b32 v42, v35 offset:2088
.LBB0_17:
	s_or_b32 exec_lo, exec_lo, s2
	s_waitcnt lgkmcnt(0)
	s_barrier
	buffer_gl0_inv
	ds_read2_b32 v[38:39], v42 offset1:54
	ds_read2_b32 v[36:37], v42 offset0:108 offset1:180
	ds_read2_b32 v[34:35], v34 offset0:104 offset1:158
	ds_read2_b32 v[40:41], v40 offset0:106 offset1:160
	ds_read_b32 v69, v42 offset:1872
	s_and_saveexec_b32 s1, vcc_lo
	s_cbranch_execz .LBB0_19
; %bb.18:
	v_add_nc_u32_e32 v29, 0x200, v42
	ds_read2_b32 v[32:33], v29 offset0:34 offset1:214
	ds_read_b32 v29, v42 offset:2088
	s_waitcnt lgkmcnt(1)
	v_lshrrev_b32_e32 v67, 16, v32
	v_lshrrev_b32_e32 v68, 16, v33
	s_waitcnt lgkmcnt(0)
	v_lshrrev_b32_e32 v66, 16, v29
.LBB0_19:
	s_or_b32 exec_lo, exec_lo, s1
	v_add_f16_e32 v30, v33, v29
	v_add_f16_e32 v73, v68, v66
	s_waitcnt lgkmcnt(2)
	v_pk_add_f16 v75, v37, v34
	v_pk_add_f16 v76, v37, v34 neg_lo:[0,1] neg_hi:[0,1]
	v_pk_add_f16 v70, v38, v37
	v_fma_f16 v31, -0.5, v30, v32
	v_sub_f16_e32 v74, v68, v66
	v_fma_f16 v37, -0.5, v73, v67
	v_sub_f16_e32 v73, v33, v29
	v_pk_fma_f16 v75, v75, 0.5, v38 op_sel_hi:[1,0,1] neg_lo:[1,0,0] neg_hi:[1,0,0]
	v_pk_mul_f16 v76, 0x3aee, v76 op_sel_hi:[0,1]
	s_waitcnt lgkmcnt(1)
	v_pk_add_f16 v71, v39, v40
	v_fmamk_f16 v30, v74, 0xbaee, v31
	v_fmac_f16_e32 v31, 0x3aee, v74
	v_fmamk_f16 v38, v73, 0x3aee, v37
	v_fmac_f16_e32 v37, 0xbaee, v73
	v_pk_add_f16 v73, v75, v76 op_sel:[0,1] op_sel_hi:[1,0] neg_lo:[0,1] neg_hi:[0,1]
	v_pk_add_f16 v74, v75, v76 op_sel:[0,1] op_sel_hi:[1,0]
	v_pk_add_f16 v34, v70, v34
	v_pk_add_f16 v70, v40, v35
	v_pk_add_f16 v40, v40, v35 neg_lo:[0,1] neg_hi:[0,1]
	v_pk_add_f16 v72, v36, v41
	s_waitcnt lgkmcnt(0)
	v_pk_add_f16 v76, v41, v69
	v_pk_add_f16 v41, v41, v69 neg_lo:[0,1] neg_hi:[0,1]
	v_bfi_b32 v75, 0xffff, v73, v74
	v_pk_fma_f16 v39, v70, 0.5, v39 op_sel_hi:[1,0,1] neg_lo:[1,0,0] neg_hi:[1,0,0]
	v_pk_mul_f16 v40, 0x3aee, v40 op_sel_hi:[0,1]
	v_pk_fma_f16 v36, v76, 0.5, v36 op_sel_hi:[1,0,1] neg_lo:[1,0,0] neg_hi:[1,0,0]
	v_pk_mul_f16 v41, 0x3aee, v41 op_sel_hi:[0,1]
	s_barrier
	buffer_gl0_inv
	ds_write2_b32 v58, v34, v75 offset1:1
	v_pk_add_f16 v34, v39, v40 op_sel:[0,1] op_sel_hi:[1,0] neg_lo:[0,1] neg_hi:[0,1]
	v_pk_add_f16 v39, v39, v40 op_sel:[0,1] op_sel_hi:[1,0]
	v_pk_add_f16 v70, v36, v41 op_sel:[0,1] op_sel_hi:[1,0] neg_lo:[0,1] neg_hi:[0,1]
	v_pk_add_f16 v36, v36, v41 op_sel:[0,1] op_sel_hi:[1,0]
	v_bfi_b32 v40, 0xffff, v74, v73
	v_pk_add_f16 v35, v71, v35
	v_bfi_b32 v41, 0xffff, v34, v39
	v_bfi_b32 v34, 0xffff, v39, v34
	v_pk_add_f16 v39, v72, v69
	v_bfi_b32 v69, 0xffff, v70, v36
	v_bfi_b32 v36, 0xffff, v36, v70
	ds_write_b32 v58, v40 offset:8
	ds_write2_b32 v59, v35, v41 offset1:1
	ds_write_b32 v59, v34 offset:8
	ds_write2_b32 v61, v39, v69 offset1:1
	ds_write_b32 v61, v36 offset:8
	s_and_saveexec_b32 s1, vcc_lo
	s_cbranch_execz .LBB0_21
; %bb.20:
	v_add_f16_e32 v34, v67, v68
	v_add_f16_e32 v32, v32, v33
	;; [unrolled: 1-line block ×4, first 2 shown]
	v_lshl_add_u32 v32, v60, 2, v53
	v_perm_b32 v34, v38, v30, 0x5040100
	v_pack_b32_f16 v29, v29, v33
	v_perm_b32 v33, v37, v31, 0x5040100
	ds_write2_b32 v32, v29, v34 offset1:1
	ds_write_b32 v32, v33 offset:8
.LBB0_21:
	s_or_b32 exec_lo, exec_lo, s1
	v_add_nc_u32_e32 v34, 0x200, v42
	v_add_nc_u32_e32 v29, 0x400, v42
	s_waitcnt lgkmcnt(0)
	s_barrier
	buffer_gl0_inv
	ds_read2_b32 v[32:33], v42 offset1:54
	ds_read2_b32 v[35:36], v42 offset0:108 offset1:162
	ds_read2_b32 v[39:40], v34 offset0:88 offset1:142
	;; [unrolled: 1-line block ×4, first 2 shown]
	s_waitcnt lgkmcnt(0)
	s_barrier
	buffer_gl0_inv
	v_lshrrev_b32_e32 v66, 16, v33
	v_lshrrev_b32_e32 v67, 16, v35
	v_lshrrev_b32_e32 v68, 16, v36
	v_mul_f16_sdwa v69, v4, v33 dst_sel:DWORD dst_unused:UNUSED_PAD src0_sel:WORD_1 src1_sel:DWORD
	v_mul_f16_sdwa v70, v5, v35 dst_sel:DWORD dst_unused:UNUSED_PAD src0_sel:WORD_1 src1_sel:DWORD
	;; [unrolled: 1-line block ×3, first 2 shown]
	v_lshrrev_b32_e32 v72, 16, v39
	v_lshrrev_b32_e32 v73, 16, v40
	;; [unrolled: 1-line block ×3, first 2 shown]
	v_mul_f16_sdwa v78, v4, v66 dst_sel:DWORD dst_unused:UNUSED_PAD src0_sel:WORD_1 src1_sel:DWORD
	v_fma_f16 v66, v4, v66, -v69
	v_mul_f16_sdwa v69, v5, v67 dst_sel:DWORD dst_unused:UNUSED_PAD src0_sel:WORD_1 src1_sel:DWORD
	v_fma_f16 v67, v5, v67, -v70
	;; [unrolled: 2-line block ×3, first 2 shown]
	v_mul_f16_sdwa v71, v7, v39 dst_sel:DWORD dst_unused:UNUSED_PAD src0_sel:WORD_1 src1_sel:DWORD
	v_mul_f16_sdwa v79, v7, v72 dst_sel:DWORD dst_unused:UNUSED_PAD src0_sel:WORD_1 src1_sel:DWORD
	v_lshrrev_b32_e32 v76, 16, v60
	v_fmac_f16_e32 v78, v4, v33
	v_fmac_f16_e32 v69, v5, v35
	;; [unrolled: 1-line block ×3, first 2 shown]
	v_mul_f16_sdwa v4, v0, v73 dst_sel:DWORD dst_unused:UNUSED_PAD src0_sel:WORD_1 src1_sel:DWORD
	v_fmac_f16_e32 v79, v7, v39
	v_fma_f16 v5, v7, v72, -v71
	v_mul_f16_sdwa v6, v0, v40 dst_sel:DWORD dst_unused:UNUSED_PAD src0_sel:WORD_1 src1_sel:DWORD
	v_mul_f16_sdwa v7, v1, v74 dst_sel:DWORD dst_unused:UNUSED_PAD src0_sel:WORD_1 src1_sel:DWORD
	v_lshrrev_b32_e32 v75, 16, v59
	v_fmac_f16_e32 v4, v0, v40
	v_mul_f16_sdwa v39, v3, v76 dst_sel:DWORD dst_unused:UNUSED_PAD src0_sel:WORD_1 src1_sel:DWORD
	v_fma_f16 v0, v0, v73, -v6
	v_fmac_f16_e32 v7, v1, v58
	v_mul_f16_sdwa v6, v3, v60 dst_sel:DWORD dst_unused:UNUSED_PAD src0_sel:WORD_1 src1_sel:DWORD
	v_lshrrev_b32_e32 v77, 16, v61
	v_mul_f16_sdwa v33, v1, v58 dst_sel:DWORD dst_unused:UNUSED_PAD src0_sel:WORD_1 src1_sel:DWORD
	v_mul_f16_sdwa v35, v2, v75 dst_sel:DWORD dst_unused:UNUSED_PAD src0_sel:WORD_1 src1_sel:DWORD
	v_add_f16_e32 v36, v79, v7
	v_fma_f16 v6, v3, v76, -v6
	v_fmac_f16_e32 v39, v3, v60
	v_lshrrev_b32_e32 v41, 16, v32
	v_fma_f16 v1, v1, v74, -v33
	v_fmac_f16_e32 v35, v2, v59
	v_mul_f16_sdwa v33, v2, v59 dst_sel:DWORD dst_unused:UNUSED_PAD src0_sel:WORD_1 src1_sel:DWORD
	v_mul_f16_sdwa v40, v57, v77 dst_sel:DWORD dst_unused:UNUSED_PAD src0_sel:WORD_1 src1_sel:DWORD
	v_add_f16_e32 v58, v32, v69
	v_fma_f16 v36, -0.5, v36, v32
	v_sub_f16_e32 v59, v67, v6
	v_add_f16_e32 v72, v69, v39
	v_fma_f16 v2, v2, v75, -v33
	v_fmac_f16_e32 v40, v57, v61
	v_add_f16_e32 v3, v58, v79
	v_fmamk_f16 v33, v59, 0xbb9c, v36
	v_sub_f16_e32 v58, v5, v1
	v_sub_f16_e32 v60, v69, v79
	;; [unrolled: 1-line block ×3, first 2 shown]
	v_mul_f16_sdwa v61, v57, v61 dst_sel:DWORD dst_unused:UNUSED_PAD src0_sel:WORD_1 src1_sel:DWORD
	v_fmac_f16_e32 v32, -0.5, v72
	v_fmac_f16_e32 v36, 0x3b9c, v59
	v_add_f16_e32 v73, v41, v67
	v_fmac_f16_e32 v33, 0xb8b4, v58
	v_add_f16_e32 v60, v60, v71
	v_fma_f16 v57, v57, v77, -v61
	v_fmamk_f16 v61, v58, 0x3b9c, v32
	v_fmac_f16_e32 v36, 0x38b4, v58
	v_fmac_f16_e32 v32, 0xbb9c, v58
	v_add_f16_e32 v58, v73, v5
	v_add_f16_e32 v3, v3, v7
	v_fmac_f16_e32 v33, 0x34f2, v60
	v_sub_f16_e32 v71, v79, v69
	v_sub_f16_e32 v72, v7, v39
	v_add_f16_e32 v74, v5, v1
	v_fmac_f16_e32 v36, 0x34f2, v60
	v_add_f16_e32 v58, v58, v1
	v_add_f16_e32 v60, v67, v6
	;; [unrolled: 1-line block ×4, first 2 shown]
	v_fma_f16 v72, -0.5, v74, v41
	v_sub_f16_e32 v39, v69, v39
	v_sub_f16_e32 v7, v79, v7
	v_sub_f16_e32 v69, v67, v5
	v_sub_f16_e32 v73, v6, v1
	v_fmac_f16_e32 v41, -0.5, v60
	v_add_f16_e32 v58, v58, v6
	v_sub_f16_e32 v5, v5, v67
	v_sub_f16_e32 v1, v1, v6
	v_add_f16_e32 v6, v78, v70
	v_fmac_f16_e32 v61, 0xb8b4, v59
	v_fmac_f16_e32 v32, 0x38b4, v59
	v_fmamk_f16 v59, v39, 0x3b9c, v72
	v_add_f16_e32 v60, v69, v73
	v_fmac_f16_e32 v72, 0xbb9c, v39
	v_fmamk_f16 v69, v7, 0xbb9c, v41
	v_add_f16_e32 v1, v5, v1
	v_fmac_f16_e32 v41, 0x3b9c, v7
	v_add_f16_e32 v5, v6, v4
	v_add_f16_e32 v6, v4, v35
	v_fmac_f16_e32 v59, 0x38b4, v7
	v_fmac_f16_e32 v72, 0xb8b4, v7
	;; [unrolled: 1-line block ×4, first 2 shown]
	v_add_f16_e32 v5, v5, v35
	v_add_f16_e32 v7, v70, v40
	v_fma_f16 v6, -0.5, v6, v78
	v_sub_f16_e32 v39, v68, v57
	v_fmac_f16_e32 v69, 0x34f2, v1
	v_fmac_f16_e32 v41, 0x34f2, v1
	v_add_f16_e32 v1, v5, v40
	v_sub_f16_e32 v5, v0, v2
	v_fmac_f16_e32 v78, -0.5, v7
	v_fmamk_f16 v7, v39, 0xbb9c, v6
	v_fmac_f16_e32 v6, 0x3b9c, v39
	v_fmac_f16_e32 v61, 0x34f2, v71
	;; [unrolled: 1-line block ×5, first 2 shown]
	v_sub_f16_e32 v60, v70, v4
	v_sub_f16_e32 v67, v40, v35
	v_fmamk_f16 v71, v5, 0x3b9c, v78
	v_fmac_f16_e32 v78, 0xbb9c, v5
	v_sub_f16_e32 v73, v4, v70
	v_sub_f16_e32 v74, v35, v40
	v_fmac_f16_e32 v7, 0xb8b4, v5
	v_fmac_f16_e32 v6, 0x38b4, v5
	v_add_f16_e32 v5, v0, v2
	v_add_f16_e32 v60, v60, v67
	v_fmac_f16_e32 v71, 0xb8b4, v39
	v_fmac_f16_e32 v78, 0x38b4, v39
	v_add_f16_e32 v39, v68, v57
	v_add_f16_e32 v67, v73, v74
	v_fma_f16 v5, -0.5, v5, v66
	v_sub_f16_e32 v40, v70, v40
	v_fmac_f16_e32 v7, 0x34f2, v60
	v_fmac_f16_e32 v6, 0x34f2, v60
	v_add_f16_e32 v60, v66, v68
	v_sub_f16_e32 v4, v4, v35
	v_fmac_f16_e32 v66, -0.5, v39
	v_fmac_f16_e32 v71, 0x34f2, v67
	v_fmac_f16_e32 v78, 0x34f2, v67
	v_fmamk_f16 v35, v40, 0x3b9c, v5
	v_sub_f16_e32 v39, v68, v0
	v_sub_f16_e32 v67, v57, v2
	v_fmamk_f16 v70, v4, 0xbb9c, v66
	v_sub_f16_e32 v68, v0, v68
	v_sub_f16_e32 v73, v2, v57
	v_fmac_f16_e32 v66, 0x3b9c, v4
	v_fmac_f16_e32 v5, 0xbb9c, v40
	v_fmac_f16_e32 v35, 0x38b4, v4
	v_add_f16_e32 v39, v39, v67
	v_fmac_f16_e32 v70, 0x38b4, v40
	v_add_f16_e32 v67, v68, v73
	v_fmac_f16_e32 v66, 0xb8b4, v40
	;; [unrolled: 2-line block ×3, first 2 shown]
	v_fmac_f16_e32 v35, 0x34f2, v39
	v_fmac_f16_e32 v70, 0x34f2, v67
	;; [unrolled: 1-line block ×3, first 2 shown]
	v_add_f16_e32 v0, v0, v2
	v_fmac_f16_e32 v5, 0x34f2, v39
	v_mul_f16_e32 v2, 0xb8b4, v35
	v_mul_f16_e32 v35, 0x3a79, v35
	;; [unrolled: 1-line block ×6, first 2 shown]
	v_add_f16_e32 v39, v0, v57
	v_mul_f16_e32 v57, 0xb8b4, v5
	v_mul_f16_e32 v74, 0xba79, v5
	v_fmac_f16_e32 v2, 0x3a79, v7
	v_fmac_f16_e32 v35, 0x38b4, v7
	;; [unrolled: 1-line block ×8, first 2 shown]
	v_add_f16_e32 v60, v3, v1
	v_add_f16_e32 v67, v33, v2
	v_add_f16_e32 v6, v58, v39
	v_add_f16_e32 v7, v59, v35
	v_add_f16_e32 v68, v61, v4
	v_add_f16_e32 v73, v32, v40
	v_add_f16_e32 v71, v69, v70
	v_add_f16_e32 v76, v41, v66
	v_add_f16_e32 v75, v36, v57
	v_add_f16_e32 v77, v72, v74
	v_sub_f16_e32 v3, v3, v1
	v_sub_f16_e32 v0, v33, v2
	;; [unrolled: 1-line block ×10, first 2 shown]
	v_pack_b32_f16 v6, v60, v6
	v_pack_b32_f16 v7, v67, v7
	;; [unrolled: 1-line block ×10, first 2 shown]
	ds_write2_b32 v56, v6, v7 offset1:3
	ds_write2_b32 v56, v32, v33 offset0:6 offset1:9
	ds_write2_b32 v56, v41, v2 offset0:12 offset1:15
	;; [unrolled: 1-line block ×4, first 2 shown]
	s_waitcnt lgkmcnt(0)
	s_barrier
	buffer_gl0_inv
	ds_read2_b32 v[2:3], v42 offset1:90
	ds_read2_b32 v[32:33], v34 offset0:52 offset1:142
	ds_read2_b32 v[6:7], v29 offset0:104 offset1:194
	s_and_saveexec_b32 s1, s0
	s_cbranch_execz .LBB0_23
; %bb.22:
	ds_read2_b32 v[0:1], v42 offset0:54 offset1:144
	ds_read2_b32 v[4:5], v34 offset0:106 offset1:196
	ds_read2_b32 v[30:31], v29 offset0:158 offset1:248
	s_waitcnt lgkmcnt(2)
	v_lshrrev_b32_e32 v35, 16, v0
	v_lshrrev_b32_e32 v40, 16, v1
	s_waitcnt lgkmcnt(1)
	v_lshrrev_b32_e32 v39, 16, v4
	v_lshrrev_b32_e32 v36, 16, v5
	;; [unrolled: 3-line block ×3, first 2 shown]
.LBB0_23:
	s_or_b32 exec_lo, exec_lo, s1
	s_waitcnt lgkmcnt(2)
	v_lshrrev_b32_e32 v29, 16, v3
	s_waitcnt lgkmcnt(1)
	v_lshrrev_b32_e32 v41, 16, v32
	v_lshrrev_b32_e32 v56, 16, v33
	v_mul_f16_sdwa v59, v8, v3 dst_sel:DWORD dst_unused:UNUSED_PAD src0_sel:WORD_1 src1_sel:DWORD
	s_waitcnt lgkmcnt(0)
	v_lshrrev_b32_e32 v57, 16, v6
	v_mul_f16_sdwa v58, v8, v29 dst_sel:DWORD dst_unused:UNUSED_PAD src0_sel:WORD_1 src1_sel:DWORD
	v_lshrrev_b32_e32 v60, 16, v7
	v_mul_f16_sdwa v61, v9, v41 dst_sel:DWORD dst_unused:UNUSED_PAD src0_sel:WORD_1 src1_sel:DWORD
	v_mul_f16_sdwa v66, v9, v32 dst_sel:DWORD dst_unused:UNUSED_PAD src0_sel:WORD_1 src1_sel:DWORD
	v_lshrrev_b32_e32 v34, 16, v2
	v_fmac_f16_e32 v58, v8, v3
	v_fma_f16 v3, v8, v29, -v59
	v_mul_f16_sdwa v8, v10, v56 dst_sel:DWORD dst_unused:UNUSED_PAD src0_sel:WORD_1 src1_sel:DWORD
	v_mul_f16_sdwa v29, v10, v33 dst_sel:DWORD dst_unused:UNUSED_PAD src0_sel:WORD_1 src1_sel:DWORD
	v_fmac_f16_e32 v61, v9, v32
	v_mul_f16_sdwa v32, v11, v57 dst_sel:DWORD dst_unused:UNUSED_PAD src0_sel:WORD_1 src1_sel:DWORD
	v_fma_f16 v9, v9, v41, -v66
	v_fmac_f16_e32 v8, v10, v33
	v_mul_f16_sdwa v33, v11, v6 dst_sel:DWORD dst_unused:UNUSED_PAD src0_sel:WORD_1 src1_sel:DWORD
	v_fma_f16 v10, v10, v56, -v29
	v_mul_f16_sdwa v29, v64, v60 dst_sel:DWORD dst_unused:UNUSED_PAD src0_sel:WORD_1 src1_sel:DWORD
	v_fmac_f16_e32 v32, v11, v6
	v_mul_f16_sdwa v6, v64, v7 dst_sel:DWORD dst_unused:UNUSED_PAD src0_sel:WORD_1 src1_sel:DWORD
	v_fma_f16 v11, v11, v57, -v33
	v_mul_f16_sdwa v33, v12, v40 dst_sel:DWORD dst_unused:UNUSED_PAD src0_sel:WORD_1 src1_sel:DWORD
	v_fmac_f16_e32 v29, v64, v7
	v_mul_f16_sdwa v7, v12, v1 dst_sel:DWORD dst_unused:UNUSED_PAD src0_sel:WORD_1 src1_sel:DWORD
	v_mul_f16_sdwa v41, v13, v39 dst_sel:DWORD dst_unused:UNUSED_PAD src0_sel:WORD_1 src1_sel:DWORD
	v_fma_f16 v6, v64, v60, -v6
	v_fmac_f16_e32 v33, v12, v1
	v_mul_f16_sdwa v1, v13, v4 dst_sel:DWORD dst_unused:UNUSED_PAD src0_sel:WORD_1 src1_sel:DWORD
	v_fma_f16 v12, v12, v40, -v7
	v_mul_f16_sdwa v7, v14, v36 dst_sel:DWORD dst_unused:UNUSED_PAD src0_sel:WORD_1 src1_sel:DWORD
	v_fmac_f16_e32 v41, v13, v4
	v_mul_f16_sdwa v4, v14, v5 dst_sel:DWORD dst_unused:UNUSED_PAD src0_sel:WORD_1 src1_sel:DWORD
	v_fma_f16 v1, v13, v39, -v1
	v_mul_f16_sdwa v13, v15, v38 dst_sel:DWORD dst_unused:UNUSED_PAD src0_sel:WORD_1 src1_sel:DWORD
	;; [unrolled: 4-line block ×3, first 2 shown]
	v_fmac_f16_e32 v13, v15, v30
	v_mul_f16_sdwa v4, v63, v31 dst_sel:DWORD dst_unused:UNUSED_PAD src0_sel:WORD_1 src1_sel:DWORD
	v_fma_f16 v5, v15, v38, -v5
	v_add_f16_e32 v15, v61, v32
	v_fmac_f16_e32 v36, v63, v31
	v_add_f16_e32 v30, v2, v61
	v_fma_f16 v31, v63, v37, -v4
	v_add_f16_e32 v4, v9, v11
	v_fmac_f16_e32 v2, -0.5, v15
	v_sub_f16_e32 v15, v9, v11
	v_add_f16_e32 v30, v30, v32
	v_add_f16_e32 v9, v34, v9
	v_fmac_f16_e32 v34, -0.5, v4
	v_sub_f16_e32 v4, v61, v32
	v_fmamk_f16 v32, v15, 0xbaee, v2
	v_fmac_f16_e32 v2, 0x3aee, v15
	v_add_f16_e32 v15, v10, v6
	v_add_f16_e32 v37, v8, v29
	;; [unrolled: 1-line block ×4, first 2 shown]
	v_fmamk_f16 v11, v4, 0x3aee, v34
	v_fmac_f16_e32 v3, -0.5, v15
	v_sub_f16_e32 v15, v8, v29
	v_add_f16_e32 v8, v58, v8
	v_fmac_f16_e32 v58, -0.5, v37
	v_sub_f16_e32 v10, v10, v6
	v_fmac_f16_e32 v34, 0xbaee, v4
	v_fmamk_f16 v4, v15, 0x3aee, v3
	v_fmac_f16_e32 v3, 0xbaee, v15
	v_add_f16_e32 v8, v8, v29
	v_fmamk_f16 v15, v10, 0xbaee, v58
	v_fmac_f16_e32 v58, 0x3aee, v10
	v_mul_f16_e32 v10, 0xbaee, v4
	v_mul_f16_e32 v29, 0xbaee, v3
	v_mul_f16_e32 v4, 0.5, v4
	v_mul_f16_e32 v3, -0.5, v3
	v_add_f16_e32 v6, v38, v6
	v_fmac_f16_e32 v10, 0.5, v15
	v_fmac_f16_e32 v29, -0.5, v58
	v_fmac_f16_e32 v4, 0x3aee, v15
	v_fmac_f16_e32 v3, 0x3aee, v58
	v_add_f16_e32 v40, v9, v6
	v_sub_f16_e32 v59, v9, v6
	v_add_f16_e32 v39, v2, v29
	v_sub_f16_e32 v58, v2, v29
	v_add_f16_e32 v2, v41, v13
	v_add_f16_e32 v56, v11, v4
	v_sub_f16_e32 v60, v11, v4
	v_add_f16_e32 v4, v0, v41
	v_add_f16_e32 v57, v34, v3
	v_fmac_f16_e32 v0, -0.5, v2
	v_sub_f16_e32 v2, v1, v5
	v_sub_f16_e32 v34, v34, v3
	v_add_f16_e32 v6, v1, v5
	v_add_f16_e32 v3, v4, v13
	;; [unrolled: 1-line block ×3, first 2 shown]
	v_fmamk_f16 v4, v2, 0xbaee, v0
	v_fmac_f16_e32 v0, 0x3aee, v2
	v_add_f16_e32 v2, v14, v31
	v_add_f16_e32 v11, v12, v14
	;; [unrolled: 1-line block ×5, first 2 shown]
	v_fmac_f16_e32 v12, -0.5, v2
	v_sub_f16_e32 v2, v7, v36
	v_add_f16_e32 v38, v32, v10
	v_sub_f16_e32 v30, v30, v8
	v_sub_f16_e32 v32, v32, v10
	v_fmac_f16_e32 v35, -0.5, v6
	v_sub_f16_e32 v8, v41, v13
	v_add_f16_e32 v7, v33, v7
	v_fmac_f16_e32 v33, -0.5, v1
	v_sub_f16_e32 v1, v14, v31
	v_fmamk_f16 v10, v2, 0x3aee, v12
	v_fmac_f16_e32 v12, 0xbaee, v2
	v_fmamk_f16 v6, v8, 0x3aee, v35
	v_fmac_f16_e32 v35, 0xbaee, v8
	;; [unrolled: 2-line block ×3, first 2 shown]
	v_mul_f16_e32 v8, 0xbaee, v10
	v_mul_f16_e32 v9, 0xbaee, v12
	v_mul_f16_e32 v10, 0.5, v10
	v_mul_f16_e32 v29, -0.5, v12
	v_add_f16_e32 v7, v7, v36
	v_add_f16_e32 v15, v11, v31
	v_fmac_f16_e32 v8, 0.5, v2
	v_fmac_f16_e32 v9, -0.5, v33
	v_fmac_f16_e32 v10, 0x3aee, v2
	v_fmac_f16_e32 v29, 0x3aee, v33
	v_sub_f16_e32 v1, v3, v7
	v_sub_f16_e32 v2, v4, v8
	;; [unrolled: 1-line block ×6, first 2 shown]
	v_pack_b32_f16 v31, v37, v40
	v_pack_b32_f16 v33, v38, v56
	v_pack_b32_f16 v36, v39, v57
	v_pack_b32_f16 v30, v30, v59
	v_pack_b32_f16 v32, v32, v60
	v_pack_b32_f16 v34, v58, v34
	s_barrier
	buffer_gl0_inv
	ds_write2_b32 v62, v31, v33 offset1:30
	ds_write2_b32 v62, v36, v30 offset0:60 offset1:90
	ds_write2_b32 v62, v32, v34 offset0:120 offset1:150
	s_and_saveexec_b32 s1, s0
	s_cbranch_execz .LBB0_25
; %bb.24:
	v_mov_b32_e32 v30, 0xb4
	v_add_f16_e32 v6, v6, v10
	v_add_f16_e32 v5, v5, v15
	;; [unrolled: 1-line block ×4, first 2 shown]
	v_mul_u32_u24_sdwa v10, v55, v30 dst_sel:DWORD dst_unused:UNUSED_PAD src0_sel:WORD_0 src1_sel:DWORD
	v_add_f16_e32 v29, v35, v29
	v_add_f16_e32 v0, v0, v9
	v_pack_b32_f16 v3, v3, v5
	v_pack_b32_f16 v4, v4, v6
	v_add_nc_u32_e32 v7, v10, v54
	v_perm_b32 v8, v11, v1, 0x5040100
	v_pack_b32_f16 v0, v0, v29
	v_perm_b32 v9, v13, v2, 0x5040100
	v_perm_b32 v6, v14, v12, 0x5040100
	v_lshl_add_u32 v5, v7, 2, v53
	ds_write2_b32 v5, v3, v4 offset1:30
	ds_write2_b32 v5, v0, v8 offset0:60 offset1:90
	ds_write2_b32 v5, v9, v6 offset0:120 offset1:150
.LBB0_25:
	s_or_b32 exec_lo, exec_lo, s1
	v_add_nc_u32_e32 v7, 0x400, v42
	v_add_nc_u32_e32 v0, 0x200, v42
	s_waitcnt lgkmcnt(0)
	s_barrier
	buffer_gl0_inv
	ds_read2_b32 v[5:6], v42 offset1:54
	ds_read2_b32 v[3:4], v42 offset0:108 offset1:180
	ds_read2_b32 v[9:10], v7 offset0:104 offset1:158
	;; [unrolled: 1-line block ×3, first 2 shown]
	ds_read_b32 v29, v42 offset:1872
	v_add_nc_u32_e32 v15, 0x1b0, v65
	s_and_saveexec_b32 s0, vcc_lo
	s_cbranch_execz .LBB0_27
; %bb.26:
	ds_read2_b32 v[1:2], v0 offset0:34 offset1:214
	ds_read_b32 v12, v42 offset:2088
	s_waitcnt lgkmcnt(1)
	v_lshrrev_b32_e32 v11, 16, v1
	v_lshrrev_b32_e32 v13, 16, v2
	s_waitcnt lgkmcnt(0)
	v_lshrrev_b32_e32 v14, 16, v12
.LBB0_27:
	s_or_b32 exec_lo, exec_lo, s0
	s_waitcnt lgkmcnt(3)
	v_lshrrev_b32_e32 v31, 16, v4
	s_waitcnt lgkmcnt(2)
	v_lshrrev_b32_e32 v32, 16, v9
	;; [unrolled: 2-line block ×3, first 2 shown]
	v_mul_f16_sdwa v39, v27, v4 dst_sel:DWORD dst_unused:UNUSED_PAD src0_sel:WORD_1 src1_sel:DWORD
	v_lshrrev_b32_e32 v35, 16, v10
	v_mul_f16_sdwa v37, v27, v31 dst_sel:DWORD dst_unused:UNUSED_PAD src0_sel:WORD_1 src1_sel:DWORD
	v_mul_f16_sdwa v41, v28, v32 dst_sel:DWORD dst_unused:UNUSED_PAD src0_sel:WORD_1 src1_sel:DWORD
	v_lshrrev_b32_e32 v38, 16, v8
	s_waitcnt lgkmcnt(0)
	v_lshrrev_b32_e32 v40, 16, v29
	v_lshrrev_b32_e32 v30, 16, v5
	v_fmac_f16_e32 v37, v27, v4
	v_mul_f16_sdwa v4, v28, v9 dst_sel:DWORD dst_unused:UNUSED_PAD src0_sel:WORD_1 src1_sel:DWORD
	v_fma_f16 v27, v27, v31, -v39
	v_mul_f16_sdwa v31, v25, v34 dst_sel:DWORD dst_unused:UNUSED_PAD src0_sel:WORD_1 src1_sel:DWORD
	v_fmac_f16_e32 v41, v28, v9
	v_mul_f16_sdwa v9, v25, v7 dst_sel:DWORD dst_unused:UNUSED_PAD src0_sel:WORD_1 src1_sel:DWORD
	v_fma_f16 v4, v28, v32, -v4
	v_mul_f16_sdwa v28, v26, v35 dst_sel:DWORD dst_unused:UNUSED_PAD src0_sel:WORD_1 src1_sel:DWORD
	;; [unrolled: 4-line block ×4, first 2 shown]
	v_fmac_f16_e32 v25, v23, v8
	v_mul_f16_sdwa v8, v24, v29 dst_sel:DWORD dst_unused:UNUSED_PAD src0_sel:WORD_1 src1_sel:DWORD
	v_fma_f16 v10, v23, v38, -v10
	v_add_f16_e32 v23, v37, v41
	v_fmac_f16_e32 v26, v24, v29
	v_add_f16_e32 v29, v5, v37
	v_fma_f16 v8, v24, v40, -v8
	v_add_f16_e32 v24, v27, v4
	v_fma_f16 v5, -0.5, v23, v5
	v_sub_f16_e32 v23, v27, v4
	v_add_f16_e32 v27, v30, v27
	v_lshrrev_b32_e32 v33, 16, v6
	v_fmac_f16_e32 v30, -0.5, v24
	v_sub_f16_e32 v24, v37, v41
	v_fmamk_f16 v32, v23, 0xbaee, v5
	v_fmac_f16_e32 v5, 0x3aee, v23
	v_add_f16_e32 v23, v31, v28
	v_add_f16_e32 v4, v27, v4
	v_fmamk_f16 v27, v24, 0x3aee, v30
	v_fmac_f16_e32 v30, 0xbaee, v24
	v_add_f16_e32 v24, v9, v7
	v_add_f16_e32 v34, v6, v31
	v_fmac_f16_e32 v6, -0.5, v23
	v_sub_f16_e32 v23, v9, v7
	v_add_f16_e32 v9, v33, v9
	v_fmac_f16_e32 v33, -0.5, v24
	v_sub_f16_e32 v24, v31, v28
	v_lshrrev_b32_e32 v36, 16, v3
	v_add_f16_e32 v34, v34, v28
	v_add_f16_e32 v7, v9, v7
	;; [unrolled: 1-line block ×3, first 2 shown]
	v_fmamk_f16 v28, v23, 0xbaee, v6
	v_fmac_f16_e32 v6, 0x3aee, v23
	v_fmamk_f16 v23, v24, 0x3aee, v33
	v_fmac_f16_e32 v33, 0xbaee, v24
	v_add_f16_e32 v24, v10, v8
	v_add_f16_e32 v31, v3, v25
	v_fmac_f16_e32 v3, -0.5, v9
	v_sub_f16_e32 v9, v10, v8
	v_add_f16_e32 v10, v36, v10
	v_fmac_f16_e32 v36, -0.5, v24
	v_sub_f16_e32 v24, v25, v26
	v_add_f16_e32 v29, v29, v41
	v_add_f16_e32 v25, v31, v26
	;; [unrolled: 1-line block ×3, first 2 shown]
	v_fmamk_f16 v26, v9, 0xbaee, v3
	v_fmac_f16_e32 v3, 0x3aee, v9
	v_fmamk_f16 v9, v24, 0x3aee, v36
	v_fmac_f16_e32 v36, 0xbaee, v24
	v_pack_b32_f16 v4, v29, v4
	v_pack_b32_f16 v7, v34, v7
	;; [unrolled: 1-line block ×9, first 2 shown]
	v_add_nc_u32_e32 v15, 0x200, v15
	ds_write2_b32 v42, v4, v7 offset1:54
	ds_write2_b32 v0, v23, v5 offset0:106 offset1:232
	ds_write_b32 v42, v6 offset:1656
	ds_write2_b32 v42, v8, v10 offset0:108 offset1:180
	ds_write2_b32 v15, v9, v3 offset0:52 offset1:232
	s_and_saveexec_b32 s0, vcc_lo
	s_cbranch_execz .LBB0_29
; %bb.28:
	v_mul_f16_sdwa v0, v21, v2 dst_sel:DWORD dst_unused:UNUSED_PAD src0_sel:WORD_1 src1_sel:DWORD
	v_mul_f16_sdwa v3, v22, v12 dst_sel:DWORD dst_unused:UNUSED_PAD src0_sel:WORD_1 src1_sel:DWORD
	;; [unrolled: 1-line block ×4, first 2 shown]
	v_fma_f16 v0, v21, v13, -v0
	v_fma_f16 v3, v22, v14, -v3
	v_fmac_f16_e32 v4, v21, v2
	v_fmac_f16_e32 v5, v22, v12
	v_add_f16_e32 v8, v11, v0
	v_add_f16_e32 v2, v0, v3
	v_sub_f16_e32 v0, v0, v3
	v_add_f16_e32 v7, v4, v5
	v_sub_f16_e32 v6, v4, v5
	v_add_f16_e32 v4, v1, v4
	v_fma_f16 v2, -0.5, v2, v11
	v_add_f16_e32 v3, v8, v3
	v_fma_f16 v1, -0.5, v7, v1
	v_add_f16_e32 v4, v4, v5
	v_fmamk_f16 v5, v6, 0xbaee, v2
	v_fmac_f16_e32 v2, 0x3aee, v6
	v_fmamk_f16 v6, v0, 0x3aee, v1
	v_fmac_f16_e32 v1, 0xbaee, v0
	v_add_nc_u32_e32 v0, 0x200, v42
	v_pack_b32_f16 v3, v4, v3
	v_pack_b32_f16 v1, v1, v2
	;; [unrolled: 1-line block ×3, first 2 shown]
	ds_write2_b32 v0, v3, v1 offset0:34 offset1:214
	ds_write_b32 v42, v2 offset:2088
.LBB0_29:
	s_or_b32 exec_lo, exec_lo, s0
	s_waitcnt lgkmcnt(0)
	s_barrier
	buffer_gl0_inv
	ds_read2_b32 v[4:5], v42 offset1:54
	ds_read2_b32 v[0:1], v42 offset0:108 offset1:180
	v_add_nc_u32_e32 v2, 0x400, v42
	v_mad_u64_u32 v[12:13], null, s8, v49, 0
	s_mov_b32 s4, 0xc901e574
	s_mov_b32 s5, 0x3f5e573a
	ds_read2_b32 v[2:3], v2 offset0:104 offset1:158
	s_waitcnt lgkmcnt(2)
	v_lshrrev_b32_e32 v6, 16, v4
	v_mul_f16_sdwa v7, v51, v4 dst_sel:DWORD dst_unused:UNUSED_PAD src0_sel:WORD_1 src1_sel:DWORD
	s_waitcnt lgkmcnt(1)
	v_lshrrev_b32_e32 v8, 16, v1
	v_mul_f16_sdwa v9, v50, v1 dst_sel:DWORD dst_unused:UNUSED_PAD src0_sel:WORD_1 src1_sel:DWORD
	v_mul_f16_sdwa v11, v51, v6 dst_sel:DWORD dst_unused:UNUSED_PAD src0_sel:WORD_1 src1_sel:DWORD
	v_fma_f16 v10, v51, v6, -v7
	v_mul_f16_sdwa v21, v50, v8 dst_sel:DWORD dst_unused:UNUSED_PAD src0_sel:WORD_1 src1_sel:DWORD
	v_fma_f16 v9, v50, v8, -v9
	s_waitcnt lgkmcnt(0)
	v_lshrrev_b32_e32 v27, 16, v2
	v_fmac_f16_e32 v11, v51, v4
	v_cvt_f32_f16_e32 v10, v10
	v_fmac_f16_e32 v21, v50, v1
	v_cvt_f32_f16_e32 v4, v9
	v_mad_u64_u32 v[6:7], null, s10, v18, 0
	v_cvt_f64_f32_e32 v[8:9], v10
	v_cvt_f32_f16_e32 v1, v11
	v_cvt_f64_f32_e32 v[10:11], v4
	v_cvt_f32_f16_e32 v21, v21
	v_mul_f16_sdwa v23, v52, v27 dst_sel:DWORD dst_unused:UNUSED_PAD src0_sel:WORD_1 src1_sel:DWORD
	v_mov_b32_e32 v4, v13
	v_cvt_f64_f32_e32 v[14:15], v1
	v_mov_b32_e32 v1, v7
	v_cvt_f64_f32_e32 v[21:22], v21
	v_fmac_f16_e32 v23, v52, v2
	v_cvt_f32_f16_e32 v7, v23
	v_mad_u64_u32 v[23:24], null, s11, v18, v[1:2]
	v_mad_u64_u32 v[24:25], null, s9, v49, v[4:5]
	v_cvt_f64_f32_e32 v[25:26], v7
	v_mul_f16_sdwa v4, v52, v2 dst_sel:DWORD dst_unused:UNUSED_PAD src0_sel:WORD_1 src1_sel:DWORD
	v_mul_f64 v[8:9], v[8:9], s[4:5]
	v_mov_b32_e32 v7, v23
	v_mul_f64 v[10:11], v[10:11], s[4:5]
	v_mov_b32_e32 v13, v24
	v_fma_f16 v4, v52, v27, -v4
	v_mul_f64 v[14:15], v[14:15], s[4:5]
	v_lshlrev_b64 v[1:2], 2, v[6:7]
	v_lshlrev_b64 v[6:7], 2, v[12:13]
	v_mul_f64 v[12:13], v[21:22], s[4:5]
	v_cvt_f32_f16_e32 v4, v4
	v_add_co_u32 v18, s0, s6, v1
	v_add_co_ci_u32_e64 v21, s0, s7, v2, s0
	v_mul_f64 v[1:2], v[25:26], s[4:5]
	v_and_or_b32 v8, 0x1ff, v9, v8
	v_bfe_u32 v23, v9, 20, 11
	v_and_or_b32 v10, 0x1ff, v11, v10
	v_lshrrev_b32_e32 v22, 8, v9
	v_lshrrev_b32_e32 v24, 8, v11
	v_cmp_ne_u32_e64 s0, 0, v8
	v_and_or_b32 v14, 0x1ff, v15, v14
	v_lshrrev_b32_e32 v26, 8, v15
	v_bfe_u32 v27, v15, 20, 11
	v_and_or_b32 v12, 0x1ff, v13, v12
	v_cndmask_b32_e64 v8, 0, 1, s0
	v_cmp_ne_u32_e64 s0, 0, v10
	v_sub_nc_u32_e32 v28, 0x3f1, v23
	v_bfe_u32 v30, v13, 20, 11
	v_sub_nc_u32_e32 v32, 0x3f1, v27
	v_lshrrev_b32_e32 v29, 8, v13
	v_cndmask_b32_e64 v10, 0, 1, s0
	v_cmp_ne_u32_e64 s0, 0, v14
	v_and_or_b32 v8, 0xffe, v22, v8
	v_med3_i32 v22, v28, 0, 13
	v_add_nc_u32_e32 v28, 0xfffffc10, v30
	v_and_or_b32 v10, 0xffe, v24, v10
	v_cndmask_b32_e64 v14, 0, 1, s0
	v_cmp_ne_u32_e64 s0, 0, v12
	v_med3_i32 v24, v32, 0, 13
	v_or_b32_e32 v32, 0x1000, v8
	v_add_nc_u32_e32 v23, 0xfffffc10, v23
	v_and_or_b32 v14, 0xffe, v26, v14
	v_cndmask_b32_e64 v12, 0, 1, s0
	v_sub_nc_u32_e32 v26, 0x3f1, v30
	v_cmp_ne_u32_e64 s0, 0, v8
	v_lshrrev_b32_e32 v34, v22, v32
	v_or_b32_e32 v30, 0x1000, v14
	v_and_or_b32 v12, 0xffe, v29, v12
	v_lshl_or_b32 v33, v23, 12, v8
	v_cndmask_b32_e64 v8, 0, 1, s0
	v_lshlrev_b32_e32 v22, v22, v34
	v_lshrrev_b32_e32 v29, v24, v30
	v_add_nc_u32_e32 v27, 0xfffffc10, v27
	v_med3_i32 v26, v26, 0, 13
	v_or_b32_e32 v35, 0x1000, v12
	v_bfe_u32 v25, v11, 20, 11
	v_lshlrev_b32_e32 v24, v24, v29
	v_lshl_or_b32 v37, v27, 12, v14
	v_or_b32_e32 v36, 0x1000, v10
	v_lshrrev_b32_e32 v38, v26, v35
	v_sub_nc_u32_e32 v31, 0x3f1, v25
	v_cmp_ne_u32_e64 s0, v24, v30
	v_lshl_or_b32 v30, v28, 12, v12
	v_lshrrev_b32_e32 v15, 16, v15
	v_lshlrev_b32_e32 v26, v26, v38
	v_med3_i32 v31, v31, 0, 13
	v_cndmask_b32_e64 v24, 0, 1, s0
	v_cmp_ne_u32_e64 s0, v22, v32
	v_lshl_or_b32 v8, v8, 9, 0x7c00
	v_lshrrev_b32_e32 v9, 16, v9
	v_and_or_b32 v1, 0x1ff, v2, v1
	v_or_b32_e32 v24, v29, v24
	v_cndmask_b32_e64 v22, 0, 1, s0
	v_cmp_ne_u32_e64 s0, 0, v14
	v_lshrrev_b32_e32 v13, 16, v13
	v_lshrrev_b32_e32 v11, 16, v11
	v_or_b32_e32 v22, v34, v22
	v_cndmask_b32_e64 v14, 0, 1, s0
	v_cmp_gt_i32_e64 s0, 1, v27
	v_lshl_or_b32 v14, v14, 9, 0x7c00
	v_cndmask_b32_e64 v24, v37, v24, s0
	v_cmp_gt_i32_e64 s0, 1, v23
	v_and_b32_e32 v29, 7, v24
	v_cndmask_b32_e64 v22, v33, v22, s0
	v_cmp_ne_u32_e64 s0, v26, v35
	v_lshrrev_b32_e32 v24, 2, v24
	v_cmp_eq_u32_e64 s1, 3, v29
	v_and_b32_e32 v32, 7, v22
	v_cndmask_b32_e64 v26, 0, 1, s0
	v_cmp_lt_i32_e64 s0, 5, v29
	v_lshrrev_b32_e32 v22, 2, v22
	v_cmp_lt_i32_e64 s2, 5, v32
	v_cmp_eq_u32_e64 s3, 3, v32
	s_or_b32 s0, s1, s0
	v_or_b32_e32 v26, v38, v26
	v_add_co_ci_u32_e64 v24, s0, 0, v24, s0
	s_or_b32 s0, s3, s2
	v_add_co_ci_u32_e64 v22, s0, 0, v22, s0
	v_cmp_gt_i32_e64 s0, 31, v27
	v_cndmask_b32_e64 v24, 0x7c00, v24, s0
	v_cmp_gt_i32_e64 s0, 1, v28
	v_cndmask_b32_e64 v26, v30, v26, s0
	;; [unrolled: 2-line block ×3, first 2 shown]
	v_cmp_eq_u32_e64 s0, 0x40f, v27
	v_and_b32_e32 v27, 7, v26
	v_cndmask_b32_e64 v14, v24, v14, s0
	v_cmp_eq_u32_e64 s0, 0x40f, v23
	v_lshrrev_b32_e32 v24, v31, v36
	v_cmp_eq_u32_e64 s1, 3, v27
	v_and_or_b32 v14, 0x8000, v15, v14
	v_cndmask_b32_e64 v8, v22, v8, s0
	v_lshlrev_b32_e32 v22, v31, v24
	v_cmp_lt_i32_e64 s0, 5, v27
	v_add_nc_u32_e32 v15, 0xfffffc10, v25
	v_and_or_b32 v8, 0x8000, v9, v8
	v_and_b32_e32 v9, 0xffff, v14
	v_lshrrev_b32_e32 v14, 2, v26
	v_cmp_ne_u32_e64 s2, v22, v36
	s_or_b32 s0, s1, s0
	v_lshl_or_b32 v23, v8, 16, v9
	v_add_co_ci_u32_e64 v14, s0, 0, v14, s0
	v_cndmask_b32_e64 v22, 0, 1, s2
	v_cmp_ne_u32_e64 s0, 0, v12
	v_cvt_f64_f32_e32 v[8:9], v4
	v_cmp_ne_u32_e64 s2, 0, v1
	v_or_b32_e32 v22, v24, v22
	v_lshl_or_b32 v24, v15, 12, v10
	v_cndmask_b32_e64 v4, 0, 1, s0
	v_cmp_gt_i32_e64 s0, 1, v15
	v_cndmask_b32_e64 v1, 0, 1, s2
	s_mul_hi_u32 s2, s8, 0xb4
	v_lshl_or_b32 v4, v4, 9, 0x7c00
	v_cndmask_b32_e64 v12, v24, v22, s0
	v_add_co_u32 v6, s0, v18, v6
	v_add_co_ci_u32_e64 v7, s0, v21, v7, s0
	v_cmp_gt_i32_e64 s0, 31, v28
	v_and_b32_e32 v18, 7, v12
	v_lshrrev_b32_e32 v12, 2, v12
	global_store_dword v[6:7], v23, off
	v_cndmask_b32_e64 v14, 0x7c00, v14, s0
	v_cmp_eq_u32_e64 s0, 0x40f, v28
	v_cmp_eq_u32_e64 s1, 3, v18
	v_mul_f64 v[8:9], v[8:9], s[4:5]
	v_cndmask_b32_e64 v4, v14, v4, s0
	v_cmp_lt_i32_e64 s0, 5, v18
	v_lshrrev_b32_e32 v14, 8, v2
	v_bfe_u32 v18, v2, 20, 11
	v_and_or_b32 v4, 0x8000, v13, v4
	s_or_b32 s0, s1, s0
	v_and_or_b32 v1, 0xffe, v14, v1
	v_add_co_ci_u32_e64 v12, s0, 0, v12, s0
	v_cmp_ne_u32_e64 s0, 0, v10
	v_sub_nc_u32_e32 v14, 0x3f1, v18
	v_or_b32_e32 v21, 0x1000, v1
	v_add_nc_u32_e32 v18, 0xfffffc10, v18
	s_mul_i32 s1, s9, 0xb4
	v_cndmask_b32_e64 v10, 0, 1, s0
	v_cmp_gt_i32_e64 s0, 31, v15
	v_med3_i32 v14, v14, 0, 13
	v_and_b32_e32 v4, 0xffff, v4
	v_and_or_b32 v8, 0x1ff, v9, v8
	v_lshl_or_b32 v10, v10, 9, 0x7c00
	v_cndmask_b32_e64 v12, 0x7c00, v12, s0
	v_cmp_eq_u32_e64 s0, 0x40f, v15
	v_lshrrev_b32_e32 v13, v14, v21
	v_bfe_u32 v22, v9, 20, 11
	s_add_i32 s3, s2, s1
	s_mul_i32 s2, s8, 0xb4
	v_cndmask_b32_e64 v10, v12, v10, s0
	v_lshrrev_b32_e32 v12, 16, v5
	v_cmp_ne_u32_e64 s0, 0, v8
	s_lshl_b64 s[12:13], s[2:3], 2
	v_and_or_b32 v15, 0x8000, v11, v10
	v_lshlrev_b32_e32 v11, v14, v13
	v_mul_f16_sdwa v10, v48, v12 dst_sel:DWORD dst_unused:UNUSED_PAD src0_sel:WORD_1 src1_sel:DWORD
	v_cndmask_b32_e64 v8, 0, 1, s0
	v_lshrrev_b32_e32 v14, 8, v9
	v_lshl_or_b32 v15, v15, 16, v4
	v_cmp_ne_u32_e64 s0, v11, v21
	v_fmac_f16_e32 v10, v48, v5
	v_lshl_or_b32 v21, v18, 12, v1
	v_and_or_b32 v8, 0xffe, v14, v8
	v_sub_nc_u32_e32 v14, 0x3f1, v22
	v_cndmask_b32_e64 v11, 0, 1, s0
	v_cvt_f32_f16_e32 v10, v10
	v_cmp_gt_i32_e64 s0, 1, v18
	v_or_b32_e32 v23, 0x1000, v8
	v_med3_i32 v14, v14, 0, 13
	v_or_b32_e32 v13, v13, v11
	v_cvt_f64_f32_e32 v[10:11], v10
	v_mul_f16_sdwa v5, v48, v5 dst_sel:DWORD dst_unused:UNUSED_PAD src0_sel:WORD_1 src1_sel:DWORD
	v_add_nc_u32_e32 v22, 0xfffffc10, v22
	v_cndmask_b32_e64 v13, v21, v13, s0
	v_lshrrev_b32_e32 v21, v14, v23
	v_fma_f16 v5, v48, v12, -v5
	v_and_b32_e32 v12, 7, v13
	v_lshlrev_b32_e32 v14, v14, v21
	v_cvt_f32_f16_e32 v4, v5
	v_cmp_lt_i32_e64 s0, 5, v12
	v_cmp_ne_u32_e64 s1, v14, v23
	v_cvt_f64_f32_e32 v[4:5], v4
	v_cndmask_b32_e64 v14, 0, 1, s1
	v_cmp_eq_u32_e64 s1, 3, v12
	v_lshrrev_b32_e32 v12, 2, v13
	v_mul_f64 v[10:11], v[10:11], s[4:5]
	v_or_b32_e32 v13, v21, v14
	s_or_b32 s0, s1, s0
	v_lshl_or_b32 v14, v22, 12, v8
	v_add_co_ci_u32_e64 v12, s0, 0, v12, s0
	v_cmp_ne_u32_e64 s0, 0, v1
	v_cndmask_b32_e64 v1, 0, 1, s0
	v_cmp_gt_i32_e64 s0, 1, v22
	v_lshl_or_b32 v1, v1, 9, 0x7c00
	v_cndmask_b32_e64 v14, v14, v13, s0
	v_add_co_u32 v6, s0, v6, s12
	v_add_co_ci_u32_e64 v7, s0, s13, v7, s0
	v_cmp_gt_i32_e64 s0, 31, v18
	v_and_b32_e32 v23, 7, v14
	v_lshrrev_b32_e32 v14, 2, v14
	v_bfe_u32 v24, v11, 20, 11
	global_store_dword v[6:7], v15, off
	v_cndmask_b32_e64 v21, 0x7c00, v12, s0
	v_mul_f64 v[12:13], v[4:5], s[4:5]
	v_and_or_b32 v5, 0x1ff, v11, v10
	v_cmp_eq_u32_e64 s0, 0x40f, v18
	v_add_nc_u32_e32 v4, 0x200, v42
	v_lshrrev_b32_e32 v18, 16, v2
	v_cmp_ne_u32_e64 s1, 0, v5
	v_cndmask_b32_e64 v10, v21, v1, s0
	v_cmp_lt_i32_e64 s0, 5, v23
	ds_read2_b32 v[1:2], v4 offset0:106 offset1:160
	v_lshrrev_b32_e32 v21, 8, v11
	v_cndmask_b32_e64 v5, 0, 1, s1
	v_cmp_eq_u32_e64 s1, 3, v23
	v_and_or_b32 v10, 0x8000, v18, v10
	v_lshrrev_b32_e32 v11, 16, v11
	v_and_or_b32 v18, 0xffe, v21, v5
	s_or_b32 s0, s1, s0
	v_sub_nc_u32_e32 v5, 0x3f1, v24
	v_add_co_ci_u32_e64 v14, s0, 0, v14, s0
	v_cmp_gt_i32_e64 s0, 31, v22
	v_and_or_b32 v12, 0x1ff, v13, v12
	v_or_b32_e32 v21, 0x1000, v18
	v_med3_i32 v5, v5, 0, 13
	v_lshrrev_b32_e32 v25, 8, v13
	v_cndmask_b32_e64 v14, 0x7c00, v14, s0
	v_cmp_ne_u32_e64 s0, 0, v8
	v_bfe_u32 v27, v13, 20, 11
	v_lshrrev_b32_e32 v23, v5, v21
	s_waitcnt lgkmcnt(0)
	v_lshrrev_b32_e32 v26, 16, v1
	v_and_b32_e32 v10, 0xffff, v10
	v_cndmask_b32_e64 v8, 0, 1, s0
	v_cmp_ne_u32_e64 s0, 0, v12
	v_lshlrev_b32_e32 v5, v5, v23
	v_sub_nc_u32_e32 v28, 0x3f1, v27
	v_lshrrev_b32_e32 v13, 16, v13
	v_lshl_or_b32 v8, v8, 9, 0x7c00
	v_cndmask_b32_e64 v12, 0, 1, s0
	v_cmp_eq_u32_e64 s0, 0x40f, v22
	v_med3_i32 v28, v28, 0, 13
	v_and_or_b32 v12, 0xffe, v25, v12
	v_mul_f16_sdwa v25, v47, v26 dst_sel:DWORD dst_unused:UNUSED_PAD src0_sel:WORD_1 src1_sel:DWORD
	v_cndmask_b32_e64 v14, v14, v8, s0
	v_cmp_ne_u32_e64 s0, v5, v21
	v_add_nc_u32_e32 v21, 0xfffffc10, v24
	v_or_b32_e32 v22, 0x1000, v12
	v_fmac_f16_e32 v25, v47, v1
	v_mul_f16_sdwa v1, v47, v1 dst_sel:DWORD dst_unused:UNUSED_PAD src0_sel:WORD_1 src1_sel:DWORD
	v_cndmask_b32_e64 v5, 0, 1, s0
	v_cmp_gt_i32_e64 s0, 1, v21
	v_lshrrev_b32_e32 v24, v28, v22
	v_cvt_f32_f16_e32 v8, v25
	v_lshrrev_b32_e32 v25, 16, v9
	v_or_b32_e32 v5, v23, v5
	v_lshl_or_b32 v23, v21, 12, v18
	v_lshlrev_b32_e32 v28, v28, v24
	v_cvt_f64_f32_e32 v[8:9], v8
	v_and_or_b32 v14, 0x8000, v25, v14
	v_fma_f16 v1, v47, v26, -v1
	v_cndmask_b32_e64 v23, v23, v5, s0
	v_cmp_ne_u32_e64 s0, v28, v22
	v_add_nc_u32_e32 v22, 0xfffffc10, v27
	v_lshl_or_b32 v10, v14, 16, v10
	v_cvt_f32_f16_e32 v1, v1
	v_and_b32_e32 v14, 7, v23
	v_cndmask_b32_e64 v5, 0, 1, s0
	v_cmp_gt_i32_e64 s1, 1, v22
	v_cmp_gt_i32_e64 s2, 31, v21
	v_or_b32_e32 v15, v24, v5
	v_lshl_or_b32 v24, v22, 12, v12
	v_add_co_u32 v5, s0, v6, s12
	v_add_co_ci_u32_e64 v6, s0, s13, v7, s0
	v_cmp_lt_i32_e64 s0, 5, v14
	v_cndmask_b32_e64 v15, v24, v15, s1
	v_cmp_eq_u32_e64 s1, 3, v14
	v_mul_f64 v[7:8], v[8:9], s[4:5]
	v_lshrrev_b32_e32 v9, 2, v23
	global_store_dword v[5:6], v10, off
	v_and_b32_e32 v10, 7, v15
	s_or_b32 s0, s1, s0
	v_lshrrev_b32_e32 v15, 2, v15
	v_add_co_ci_u32_e64 v14, s0, 0, v9, s0
	v_cmp_ne_u32_e64 s0, 0, v18
	v_cmp_eq_u32_e64 s1, 3, v10
	v_cndmask_b32_e64 v18, 0, 1, s0
	v_cmp_lt_i32_e64 s0, 5, v10
	v_cvt_f64_f32_e32 v[9:10], v1
	v_cndmask_b32_e64 v1, 0x7c00, v14, s2
	s_mul_i32 s2, s8, 0xfffffece
	v_lshl_or_b32 v14, v18, 9, 0x7c00
	s_or_b32 s0, s1, s0
	s_mul_hi_u32 s1, s8, 0xfffffece
	v_add_co_ci_u32_e64 v15, s0, 0, v15, s0
	v_cmp_eq_u32_e64 s0, 0x40f, v21
	v_and_or_b32 v7, 0x1ff, v8, v7
	v_bfe_u32 v18, v8, 20, 11
	v_lshrrev_b32_e32 v21, 16, v3
	s_sub_i32 s1, s1, s8
	v_cndmask_b32_e64 v1, v1, v14, s0
	v_cmp_gt_i32_e64 s0, 31, v22
	v_mul_f16_sdwa v23, v46, v21 dst_sel:DWORD dst_unused:UNUSED_PAD src0_sel:WORD_1 src1_sel:DWORD
	v_and_or_b32 v1, 0x8000, v11, v1
	v_cndmask_b32_e64 v14, 0x7c00, v15, s0
	v_cmp_ne_u32_e64 s0, 0, v7
	v_lshrrev_b32_e32 v15, 8, v8
	v_mul_f64 v[9:10], v[9:10], s[4:5]
	v_fmac_f16_e32 v23, v46, v3
	v_and_b32_e32 v1, 0xffff, v1
	v_cndmask_b32_e64 v7, 0, 1, s0
	v_cmp_ne_u32_e64 s0, 0, v12
	v_mul_f16_sdwa v3, v46, v3 dst_sel:DWORD dst_unused:UNUSED_PAD src0_sel:WORD_1 src1_sel:DWORD
	v_cvt_f32_f16_e32 v11, v23
	v_and_or_b32 v7, 0xffe, v15, v7
	v_sub_nc_u32_e32 v15, 0x3f1, v18
	v_cndmask_b32_e64 v12, 0, 1, s0
	v_cmp_eq_u32_e64 s0, 0x40f, v22
	v_fma_f16 v3, v46, v21, -v3
	v_or_b32_e32 v24, 0x1000, v7
	v_med3_i32 v15, v15, 0, 13
	v_lshl_or_b32 v12, v12, 9, 0x7c00
	v_cvt_f32_f16_e32 v3, v3
	v_lshrrev_b32_e32 v22, v15, v24
	v_cndmask_b32_e64 v14, v14, v12, s0
	v_cvt_f64_f32_e32 v[11:12], v11
	s_mul_i32 s0, s9, 0xfffffece
	v_and_or_b32 v9, 0x1ff, v10, v9
	v_lshlrev_b32_e32 v15, v15, v22
	s_add_i32 s3, s1, s0
	v_and_or_b32 v13, 0x8000, v13, v14
	v_bfe_u32 v23, v10, 20, 11
	s_lshl_b64 s[6:7], s[2:3], 2
	v_cmp_ne_u32_e64 s0, v15, v24
	v_add_nc_u32_e32 v15, 0xfffffc10, v18
	v_lshl_or_b32 v1, v13, 16, v1
	v_sub_nc_u32_e32 v13, 0x3f1, v23
	v_add_nc_u32_e32 v21, 0xfffffc10, v23
	v_cndmask_b32_e64 v14, 0, 1, s0
	v_cmp_ne_u32_e64 s0, 0, v9
	v_lshl_or_b32 v18, v15, 12, v7
	v_med3_i32 v13, v13, 0, 13
	v_or_b32_e32 v14, v22, v14
	v_cndmask_b32_e64 v9, 0, 1, s0
	v_lshrrev_b32_e32 v22, 8, v10
	v_cmp_gt_i32_e64 s0, 1, v15
	v_mul_f64 v[11:12], v[11:12], s[4:5]
	v_lshrrev_b32_e32 v10, 16, v10
	v_and_or_b32 v9, 0xffe, v22, v9
	v_cndmask_b32_e64 v14, v18, v14, s0
	v_add_co_u32 v5, s0, v5, s6
	v_add_co_ci_u32_e64 v6, s0, s7, v6, s0
	v_or_b32_e32 v22, 0x1000, v9
	v_and_b32_e32 v18, 7, v14
	global_store_dword v[5:6], v1, off
	v_lshrrev_b32_e32 v1, 2, v14
	v_lshrrev_b32_e32 v24, v13, v22
	v_cmp_lt_i32_e64 s0, 5, v18
	v_cmp_eq_u32_e64 s1, 3, v18
	v_lshlrev_b32_e32 v13, v13, v24
	s_or_b32 s0, s1, s0
	v_and_or_b32 v11, 0x1ff, v12, v11
	v_add_co_ci_u32_e64 v1, s0, 0, v1, s0
	v_cmp_ne_u32_e64 s0, v13, v22
	v_cvt_f64_f32_e32 v[13:14], v3
	v_lshrrev_b32_e32 v22, 8, v12
	v_bfe_u32 v23, v12, 20, 11
	v_cndmask_b32_e64 v18, 0, 1, s0
	v_cmp_gt_i32_e64 s0, 31, v15
	v_or_b32_e32 v3, v24, v18
	v_cndmask_b32_e64 v1, 0x7c00, v1, s0
	v_cmp_ne_u32_e64 s0, 0, v11
	v_lshl_or_b32 v18, v21, 12, v9
	v_cndmask_b32_e64 v11, 0, 1, s0
	v_cmp_ne_u32_e64 s0, 0, v7
	v_and_or_b32 v11, 0xffe, v22, v11
	v_cndmask_b32_e64 v7, 0, 1, s0
	v_cmp_gt_i32_e64 s0, 1, v21
	v_lshrrev_b32_e32 v22, 16, v0
	v_mul_f64 v[13:14], v[13:14], s[4:5]
	v_or_b32_e32 v25, 0x1000, v11
	v_lshl_or_b32 v7, v7, 9, 0x7c00
	v_cndmask_b32_e64 v3, v18, v3, s0
	v_sub_nc_u32_e32 v18, 0x3f1, v23
	v_cmp_eq_u32_e64 s0, 0x40f, v15
	v_mul_f16_sdwa v26, v45, v22 dst_sel:DWORD dst_unused:UNUSED_PAD src0_sel:WORD_1 src1_sel:DWORD
	v_add_nc_u32_e32 v23, 0xfffffc10, v23
	v_and_b32_e32 v24, 7, v3
	v_med3_i32 v18, v18, 0, 13
	v_cndmask_b32_e64 v1, v1, v7, s0
	v_lshrrev_b32_e32 v3, 2, v3
	v_fmac_f16_e32 v26, v45, v0
	v_cmp_lt_i32_e64 s0, 5, v24
	v_cmp_eq_u32_e64 s1, 3, v24
	v_lshrrev_b32_e32 v15, v18, v25
	v_lshrrev_b32_e32 v24, 16, v8
	v_cvt_f32_f16_e32 v7, v26
	v_mul_f16_sdwa v0, v45, v0 dst_sel:DWORD dst_unused:UNUSED_PAD src0_sel:WORD_1 src1_sel:DWORD
	s_or_b32 s0, s1, s0
	v_lshlrev_b32_e32 v18, v18, v15
	v_add_co_ci_u32_e64 v3, s0, 0, v3, s0
	v_cmp_ne_u32_e64 s0, 0, v9
	v_cvt_f64_f32_e32 v[7:8], v7
	v_and_or_b32 v13, 0x1ff, v14, v13
	v_and_or_b32 v1, 0x8000, v24, v1
	v_fma_f16 v0, v45, v22, -v0
	v_cndmask_b32_e64 v9, 0, 1, s0
	v_cmp_ne_u32_e64 s0, v18, v25
	v_lshrrev_b32_e32 v24, 16, v2
	v_and_b32_e32 v1, 0xffff, v1
	v_cvt_f32_f16_e32 v0, v0
	v_lshl_or_b32 v9, v9, 9, 0x7c00
	v_cndmask_b32_e64 v18, 0, 1, s0
	v_cmp_gt_i32_e64 s0, 31, v21
	v_mul_f16_sdwa v25, v44, v24 dst_sel:DWORD dst_unused:UNUSED_PAD src0_sel:WORD_1 src1_sel:DWORD
	v_or_b32_e32 v15, v15, v18
	v_cndmask_b32_e64 v3, 0x7c00, v3, s0
	v_cmp_eq_u32_e64 s0, 0x40f, v21
	v_lshl_or_b32 v18, v23, 12, v11
	v_fmac_f16_e32 v25, v44, v2
	v_mul_f16_sdwa v2, v44, v2 dst_sel:DWORD dst_unused:UNUSED_PAD src0_sel:WORD_1 src1_sel:DWORD
	v_cndmask_b32_e64 v3, v3, v9, s0
	v_cmp_gt_i32_e64 s0, 1, v23
	v_mul_f64 v[7:8], v[7:8], s[4:5]
	v_fma_f16 v2, v44, v24, -v2
	v_and_or_b32 v3, 0x8000, v10, v3
	v_cndmask_b32_e64 v9, v18, v15, s0
	v_cmp_ne_u32_e64 s0, 0, v13
	v_lshrrev_b32_e32 v15, 8, v14
	v_bfe_u32 v18, v14, 20, 11
	v_lshl_or_b32 v22, v3, 16, v1
	v_and_b32_e32 v21, 7, v9
	v_cndmask_b32_e64 v13, 0, 1, s0
	v_lshrrev_b32_e32 v9, 2, v9
	v_lshrrev_b32_e32 v14, 16, v14
	v_cvt_f32_f16_e32 v2, v2
	v_cmp_lt_i32_e64 s0, 5, v21
	v_and_or_b32 v13, 0xffe, v15, v13
	v_sub_nc_u32_e32 v15, 0x3f1, v18
	v_cmp_eq_u32_e64 s1, 3, v21
	v_or_b32_e32 v10, 0x1000, v13
	v_med3_i32 v15, v15, 0, 13
	s_or_b32 s0, s1, s0
	v_and_or_b32 v7, 0x1ff, v8, v7
	v_add_co_ci_u32_e64 v9, s0, 0, v9, s0
	v_lshrrev_b32_e32 v21, v15, v10
	v_cmp_gt_i32_e64 s0, 31, v23
	v_lshlrev_b32_e32 v1, v15, v21
	v_cndmask_b32_e64 v3, 0x7c00, v9, s0
	v_add_nc_u32_e32 v15, 0xfffffc10, v18
	v_bfe_u32 v18, v8, 20, 11
	v_cmp_ne_u32_e64 s0, v1, v10
	v_cvt_f64_f32_e32 v[0:1], v0
	v_lshrrev_b32_e32 v10, 8, v8
	v_cndmask_b32_e64 v9, 0, 1, s0
	v_cmp_ne_u32_e64 s0, 0, v7
	v_or_b32_e32 v9, v21, v9
	v_cndmask_b32_e64 v7, 0, 1, s0
	v_cmp_ne_u32_e64 s0, 0, v11
	v_lshl_or_b32 v21, v15, 12, v13
	v_and_or_b32 v7, 0xffe, v10, v7
	v_cndmask_b32_e64 v11, 0, 1, s0
	v_sub_nc_u32_e32 v10, 0x3f1, v18
	v_cmp_gt_i32_e64 s0, 1, v15
	v_lshl_or_b32 v11, v11, 9, 0x7c00
	v_med3_i32 v10, v10, 0, 13
	v_cndmask_b32_e64 v9, v21, v9, s0
	v_or_b32_e32 v21, 0x1000, v7
	v_cmp_eq_u32_e64 s0, 0x40f, v23
	v_mul_f64 v[0:1], v[0:1], s[4:5]
	v_lshrrev_b32_e32 v23, v10, v21
	v_cndmask_b32_e64 v3, v3, v11, s0
	v_lshrrev_b32_e32 v11, 16, v12
	v_and_b32_e32 v12, 7, v9
	v_add_co_u32 v5, s0, v5, s12
	v_lshlrev_b32_e32 v10, v10, v23
	v_add_co_ci_u32_e64 v6, s0, s13, v6, s0
	v_cmp_lt_i32_e64 s0, 5, v12
	v_cmp_eq_u32_e64 s1, 3, v12
	v_lshrrev_b32_e32 v9, 2, v9
	v_cmp_ne_u32_e64 s2, v10, v21
	v_and_or_b32 v3, 0x8000, v11, v3
	v_add_nc_u32_e32 v11, 0xfffffc10, v18
	s_or_b32 s0, s1, s0
	v_cvt_f32_f16_e32 v12, v25
	v_cndmask_b32_e64 v10, 0, 1, s2
	v_add_co_ci_u32_e64 v18, s0, 0, v9, s0
	v_cmp_ne_u32_e64 s0, 0, v13
	v_and_or_b32 v0, 0x1ff, v1, v0
	v_or_b32_e32 v21, v23, v10
	v_cvt_f64_f32_e32 v[9:10], v12
	v_lshl_or_b32 v12, v11, 12, v7
	v_cndmask_b32_e64 v13, 0, 1, s0
	v_cmp_gt_i32_e64 s0, 1, v11
	v_bfe_u32 v23, v1, 20, 11
	v_and_b32_e32 v3, 0xffff, v3
	v_lshl_or_b32 v13, v13, 9, 0x7c00
	v_cndmask_b32_e64 v12, v12, v21, s0
	v_cmp_ne_u32_e64 s0, 0, v0
	v_lshrrev_b32_e32 v21, 8, v1
	v_and_b32_e32 v25, 7, v12
	v_cndmask_b32_e64 v0, 0, 1, s0
	v_cmp_gt_i32_e64 s0, 31, v15
	v_lshrrev_b32_e32 v12, 2, v12
	v_cmp_eq_u32_e64 s1, 3, v25
	v_and_or_b32 v0, 0xffe, v21, v0
	v_cndmask_b32_e64 v18, 0x7c00, v18, s0
	v_cmp_eq_u32_e64 s0, 0x40f, v15
	v_sub_nc_u32_e32 v15, 0x3f1, v23
	v_mul_f64 v[9:10], v[9:10], s[4:5]
	v_cndmask_b32_e64 v13, v18, v13, s0
	v_cmp_lt_i32_e64 s0, 5, v25
	v_or_b32_e32 v18, 0x1000, v0
	v_med3_i32 v15, v15, 0, 13
	v_and_or_b32 v13, 0x8000, v14, v13
	s_or_b32 s0, s1, s0
	v_add_co_ci_u32_e64 v12, s0, 0, v12, s0
	v_lshrrev_b32_e32 v14, v15, v18
	v_cmp_ne_u32_e64 s0, 0, v7
	v_lshl_or_b32 v13, v13, 16, v3
	v_lshlrev_b32_e32 v3, v15, v14
	v_cndmask_b32_e64 v7, 0, 1, s0
	v_cmp_gt_i32_e64 s0, 31, v11
	ds_read_b32 v15, v42 offset:1872
	v_and_or_b32 v9, 0x1ff, v10, v9
	v_bfe_u32 v21, v10, 20, 11
	v_lshl_or_b32 v7, v7, 9, 0x7c00
	v_cndmask_b32_e64 v12, 0x7c00, v12, s0
	v_cmp_ne_u32_e64 s0, v3, v18
	v_add_nc_u32_e32 v18, 0xfffffc10, v23
	v_lshrrev_b32_e32 v23, 16, v8
	v_cndmask_b32_e64 v3, 0, 1, s0
	v_cmp_eq_u32_e64 s0, 0x40f, v11
	v_cndmask_b32_e64 v11, v12, v7, s0
	v_cmp_ne_u32_e64 s0, 0, v9
	v_or_b32_e32 v7, v14, v3
	v_lshl_or_b32 v12, v18, 12, v0
	v_lshrrev_b32_e32 v14, 8, v10
	v_cvt_f64_f32_e32 v[2:3], v2
	v_cndmask_b32_e64 v9, 0, 1, s0
	v_cmp_gt_i32_e64 s0, 1, v18
	v_and_or_b32 v23, 0x8000, v23, v11
	v_lshrrev_b32_e32 v10, 16, v10
	v_and_or_b32 v9, 0xffe, v14, v9
	v_cndmask_b32_e64 v12, v12, v7, s0
	v_sub_nc_u32_e32 v7, 0x3f1, v21
	s_waitcnt lgkmcnt(0)
	v_lshrrev_b32_e32 v14, 16, v15
	v_add_nc_u32_e32 v21, 0xfffffc10, v21
	v_or_b32_e32 v25, 0x1000, v9
	v_and_b32_e32 v24, 7, v12
	v_med3_i32 v26, v7, 0, 13
	v_mul_f16_sdwa v27, v43, v14 dst_sel:DWORD dst_unused:UNUSED_PAD src0_sel:WORD_1 src1_sel:DWORD
	v_add_co_u32 v7, s0, v5, s12
	v_add_co_ci_u32_e64 v8, s0, s13, v6, s0
	v_lshrrev_b32_e32 v28, v26, v25
	v_fmac_f16_e32 v27, v43, v15
	v_cmp_lt_i32_e64 s0, 5, v24
	v_cmp_eq_u32_e64 s1, 3, v24
	v_lshrrev_b32_e32 v11, 2, v12
	v_lshlrev_b32_e32 v24, v26, v28
	v_cvt_f32_f16_e32 v12, v27
	v_mul_f64 v[2:3], v[2:3], s[4:5]
	s_or_b32 s0, s1, s0
	v_mul_f16_sdwa v15, v43, v15 dst_sel:DWORD dst_unused:UNUSED_PAD src0_sel:WORD_1 src1_sel:DWORD
	v_add_co_ci_u32_e64 v26, s0, 0, v11, s0
	v_cmp_ne_u32_e64 s0, v24, v25
	v_cvt_f64_f32_e32 v[11:12], v12
	v_lshl_or_b32 v25, v21, 12, v9
	v_fma_f16 v14, v43, v14, -v15
	v_cndmask_b32_e64 v24, 0, 1, s0
	v_cmp_ne_u32_e64 s0, 0, v0
	v_cvt_f32_f16_e32 v14, v14
	v_or_b32_e32 v24, v28, v24
	v_cndmask_b32_e64 v0, 0, 1, s0
	v_cmp_gt_i32_e64 s0, 31, v18
	v_lshl_or_b32 v0, v0, 9, 0x7c00
	v_cndmask_b32_e64 v15, 0x7c00, v26, s0
	v_cmp_gt_i32_e64 s0, 1, v21
	v_and_or_b32 v2, 0x1ff, v3, v2
	v_bfe_u32 v26, v3, 20, 11
	v_cndmask_b32_e64 v24, v25, v24, s0
	v_cmp_eq_u32_e64 s0, 0x40f, v18
	v_mul_f64 v[11:12], v[11:12], s[4:5]
	v_lshrrev_b32_e32 v18, 16, v1
	v_lshrrev_b32_e32 v25, 8, v3
	;; [unrolled: 1-line block ×3, first 2 shown]
	v_cndmask_b32_e64 v15, v15, v0, s0
	v_cvt_f64_f32_e32 v[0:1], v14
	v_cmp_ne_u32_e64 s0, 0, v2
	v_and_b32_e32 v14, 7, v24
	v_and_or_b32 v15, 0x8000, v18, v15
	v_and_b32_e32 v18, 0xffff, v23
	v_cndmask_b32_e64 v2, 0, 1, s0
	v_cmp_lt_i32_e64 s0, 5, v14
	v_cmp_eq_u32_e64 s1, 3, v14
	v_sub_nc_u32_e32 v23, 0x3f1, v26
	v_lshl_or_b32 v14, v15, 16, v18
	v_lshrrev_b32_e32 v15, 2, v24
	v_and_or_b32 v2, 0xffe, v25, v2
	s_or_b32 s0, s1, s0
	v_med3_i32 v23, v23, 0, 13
	v_add_co_ci_u32_e64 v15, s0, 0, v15, s0
	v_or_b32_e32 v18, 0x1000, v2
	v_cmp_ne_u32_e64 s0, 0, v9
	v_and_or_b32 v11, 0x1ff, v12, v11
	v_lshrrev_b32_e32 v25, 8, v12
	v_mul_f64 v[0:1], v[0:1], s[4:5]
	v_lshrrev_b32_e32 v24, v23, v18
	v_cndmask_b32_e64 v9, 0, 1, s0
	v_cmp_gt_i32_e64 s0, 31, v21
	v_bfe_u32 v27, v12, 20, 11
	v_lshrrev_b32_e32 v12, 16, v12
	v_lshlrev_b32_e32 v23, v23, v24
	v_lshl_or_b32 v9, v9, 9, 0x7c00
	v_cndmask_b32_e64 v15, 0x7c00, v15, s0
	v_cmp_ne_u32_e64 s0, 0, v11
	v_cndmask_b32_e64 v11, 0, 1, s0
	v_cmp_ne_u32_e64 s0, v23, v18
	v_add_nc_u32_e32 v23, 0xfffffc10, v26
	v_and_or_b32 v11, 0xffe, v25, v11
	v_cndmask_b32_e64 v18, 0, 1, s0
	v_sub_nc_u32_e32 v25, 0x3f1, v27
	v_cmp_eq_u32_e64 s0, 0x40f, v21
	v_and_or_b32 v0, 0x1ff, v1, v0
	v_or_b32_e32 v21, 0x1000, v11
	v_bfe_u32 v26, v1, 20, 11
	v_cndmask_b32_e64 v9, v15, v9, s0
	v_or_b32_e32 v15, v24, v18
	v_lshl_or_b32 v18, v23, 12, v2
	v_med3_i32 v24, v25, 0, 13
	v_cmp_gt_i32_e64 s0, 1, v23
	v_lshrrev_b32_e32 v25, 8, v1
	v_and_or_b32 v9, 0x8000, v10, v9
	v_sub_nc_u32_e32 v10, 0x3f1, v26
	v_lshrrev_b32_e32 v1, 16, v1
	v_cndmask_b32_e64 v15, v18, v15, s0
	v_lshrrev_b32_e32 v18, v24, v21
	v_cmp_ne_u32_e64 s0, 0, v0
	v_med3_i32 v10, v10, 0, 13
	v_and_b32_e32 v9, 0xffff, v9
	v_and_b32_e32 v28, 7, v15
	v_lshlrev_b32_e32 v24, v24, v18
	v_cndmask_b32_e64 v0, 0, 1, s0
	v_lshrrev_b32_e32 v15, 2, v15
	v_cmp_lt_i32_e64 s0, 5, v28
	v_cmp_ne_u32_e64 s1, v24, v21
	v_and_or_b32 v0, 0xffe, v25, v0
	v_add_nc_u32_e32 v25, 0xfffffc10, v27
	v_cndmask_b32_e64 v21, 0, 1, s1
	v_cmp_eq_u32_e64 s1, 3, v28
	v_or_b32_e32 v24, 0x1000, v0
	v_lshl_or_b32 v27, v25, 12, v11
	v_or_b32_e32 v18, v18, v21
	s_or_b32 s0, s1, s0
	v_lshrrev_b32_e32 v21, v10, v24
	v_add_co_ci_u32_e64 v15, s0, 0, v15, s0
	v_cmp_gt_i32_e64 s0, 1, v25
	v_lshlrev_b32_e32 v10, v10, v21
	v_cndmask_b32_e64 v18, v27, v18, s0
	v_cmp_ne_u32_e64 s0, 0, v2
	v_cndmask_b32_e64 v2, 0, 1, s0
	v_cmp_ne_u32_e64 s0, v10, v24
	v_add_nc_u32_e32 v24, 0xfffffc10, v26
	v_and_b32_e32 v26, 7, v18
	v_lshl_or_b32 v2, v2, 9, 0x7c00
	v_cndmask_b32_e64 v10, 0, 1, s0
	v_cmp_gt_i32_e64 s0, 31, v23
	v_cmp_gt_i32_e64 s2, 1, v24
	v_cmp_eq_u32_e64 s1, 3, v26
	v_or_b32_e32 v10, v21, v10
	v_lshl_or_b32 v21, v24, 12, v0
	v_cndmask_b32_e64 v15, 0x7c00, v15, s0
	v_cmp_lt_i32_e64 s0, 5, v26
	v_cndmask_b32_e64 v10, v21, v10, s2
	v_cmp_eq_u32_e64 s2, 0x40f, v23
	s_or_b32 s0, s1, s0
	v_cndmask_b32_e64 v2, v15, v2, s2
	v_lshrrev_b32_e32 v15, 2, v18
	v_and_b32_e32 v18, 7, v10
	v_lshrrev_b32_e32 v10, 2, v10
	v_cmp_gt_i32_e64 s2, 31, v25
	v_add_co_ci_u32_e64 v15, s0, 0, v15, s0
	v_cmp_ne_u32_e64 s0, 0, v11
	v_cmp_eq_u32_e64 s1, 3, v18
	v_cndmask_b32_e64 v15, 0x7c00, v15, s2
	v_cndmask_b32_e64 v11, 0, 1, s0
	v_cmp_lt_i32_e64 s0, 5, v18
	v_lshl_or_b32 v11, v11, 9, 0x7c00
	s_or_b32 s0, s1, s0
	v_add_co_ci_u32_e64 v10, s0, 0, v10, s0
	v_cmp_ne_u32_e64 s0, 0, v0
	v_cndmask_b32_e64 v0, 0, 1, s0
	v_cmp_eq_u32_e64 s0, 0x40f, v25
	v_lshl_or_b32 v0, v0, 9, 0x7c00
	v_cndmask_b32_e64 v11, v15, v11, s0
	v_cmp_gt_i32_e64 s0, 31, v24
	v_and_or_b32 v15, 0x8000, v3, v2
	v_and_or_b32 v11, 0x8000, v12, v11
	v_cndmask_b32_e64 v10, 0x7c00, v10, s0
	v_cmp_eq_u32_e64 s0, 0x40f, v24
	v_lshl_or_b32 v12, v15, 16, v9
	v_cndmask_b32_e64 v0, v10, v0, s0
	v_add_co_u32 v2, s0, v7, s6
	v_add_co_ci_u32_e64 v3, s0, s7, v8, s0
	v_and_or_b32 v0, 0x8000, v1, v0
	v_and_b32_e32 v1, 0xffff, v11
	v_add_co_u32 v9, s0, v2, s12
	v_add_co_ci_u32_e64 v10, s0, s13, v3, s0
	v_lshl_or_b32 v11, v0, 16, v1
	v_add_co_u32 v0, s0, v9, s12
	v_add_co_ci_u32_e64 v1, s0, s13, v10, s0
	global_store_dword v[5:6], v22, off
	global_store_dword v[7:8], v13, off
	;; [unrolled: 1-line block ×5, first 2 shown]
	s_and_b32 exec_lo, exec_lo, vcc_lo
	s_cbranch_execz .LBB0_31
; %bb.30:
	s_clause 0x2
	global_load_dword v5, v[16:17], off offset:648
	global_load_dword v6, v[16:17], off offset:1368
	;; [unrolled: 1-line block ×3, first 2 shown]
	ds_read2_b32 v[2:3], v4 offset0:34 offset1:214
	ds_read_b32 v8, v42 offset:2088
	v_add_co_u32 v0, vcc_lo, v0, s6
	v_add_co_ci_u32_e32 v1, vcc_lo, s7, v1, vcc_lo
	v_add_co_u32 v14, vcc_lo, v0, s12
	v_add_co_ci_u32_e32 v15, vcc_lo, s13, v1, vcc_lo
	s_waitcnt lgkmcnt(1)
	v_lshrrev_b32_e32 v4, 16, v2
	v_lshrrev_b32_e32 v10, 16, v3
	s_waitcnt lgkmcnt(0)
	v_lshrrev_b32_e32 v12, 16, v8
	s_waitcnt vmcnt(2)
	v_mul_f16_sdwa v9, v4, v5 dst_sel:DWORD dst_unused:UNUSED_PAD src0_sel:DWORD src1_sel:WORD_1
	v_mul_f16_sdwa v11, v2, v5 dst_sel:DWORD dst_unused:UNUSED_PAD src0_sel:DWORD src1_sel:WORD_1
	s_waitcnt vmcnt(1)
	v_mul_f16_sdwa v13, v10, v6 dst_sel:DWORD dst_unused:UNUSED_PAD src0_sel:DWORD src1_sel:WORD_1
	v_fmac_f16_e32 v9, v2, v5
	v_fma_f16 v2, v5, v4, -v11
	v_mul_f16_sdwa v5, v3, v6 dst_sel:DWORD dst_unused:UNUSED_PAD src0_sel:DWORD src1_sel:WORD_1
	v_fmac_f16_e32 v13, v3, v6
	v_cvt_f32_f16_e32 v4, v9
	v_cvt_f32_f16_e32 v11, v2
	s_waitcnt vmcnt(0)
	v_mul_f16_sdwa v9, v12, v7 dst_sel:DWORD dst_unused:UNUSED_PAD src0_sel:DWORD src1_sel:WORD_1
	v_fma_f16 v6, v6, v10, -v5
	v_mul_f16_sdwa v10, v8, v7 dst_sel:DWORD dst_unused:UNUSED_PAD src0_sel:DWORD src1_sel:WORD_1
	v_cvt_f64_f32_e32 v[2:3], v4
	v_cvt_f32_f16_e32 v13, v13
	v_cvt_f64_f32_e32 v[4:5], v11
	v_fmac_f16_e32 v9, v8, v7
	v_cvt_f32_f16_e32 v8, v6
	v_fma_f16 v10, v7, v12, -v10
	v_cvt_f64_f32_e32 v[6:7], v13
	v_cvt_f32_f16_e32 v11, v9
	v_cvt_f64_f32_e32 v[8:9], v8
	v_cvt_f32_f16_e32 v12, v10
	v_cvt_f64_f32_e32 v[10:11], v11
	v_cvt_f64_f32_e32 v[12:13], v12
	v_mul_f64 v[2:3], v[2:3], s[4:5]
	v_mul_f64 v[4:5], v[4:5], s[4:5]
	;; [unrolled: 1-line block ×6, first 2 shown]
	v_and_or_b32 v2, 0x1ff, v3, v2
	v_lshrrev_b32_e32 v16, 8, v3
	v_and_or_b32 v4, 0x1ff, v5, v4
	v_bfe_u32 v17, v3, 20, 11
	v_lshrrev_b32_e32 v18, 8, v5
	v_cmp_ne_u32_e32 vcc_lo, 0, v2
	v_and_or_b32 v6, 0x1ff, v7, v6
	v_bfe_u32 v19, v5, 20, 11
	v_lshrrev_b32_e32 v20, 8, v7
	v_and_or_b32 v8, 0x1ff, v9, v8
	v_cndmask_b32_e64 v2, 0, 1, vcc_lo
	v_cmp_ne_u32_e32 vcc_lo, 0, v4
	v_bfe_u32 v21, v7, 20, 11
	v_and_or_b32 v10, 0x1ff, v11, v10
	v_bfe_u32 v23, v9, 20, 11
	v_and_or_b32 v12, 0x1ff, v13, v12
	v_cndmask_b32_e64 v4, 0, 1, vcc_lo
	v_cmp_ne_u32_e32 vcc_lo, 0, v6
	v_and_or_b32 v2, 0xffe, v16, v2
	v_sub_nc_u32_e32 v28, 0x3f1, v17
	v_add_nc_u32_e32 v17, 0xfffffc10, v17
	v_sub_nc_u32_e32 v29, 0x3f1, v19
	v_cndmask_b32_e64 v6, 0, 1, vcc_lo
	v_cmp_ne_u32_e32 vcc_lo, 0, v8
	v_and_or_b32 v4, 0xffe, v18, v4
	v_lshrrev_b32_e32 v22, 8, v9
	v_bfe_u32 v25, v11, 20, 11
	v_bfe_u32 v27, v13, 20, 11
	v_cndmask_b32_e64 v8, 0, 1, vcc_lo
	v_cmp_ne_u32_e32 vcc_lo, 0, v10
	v_add_nc_u32_e32 v19, 0xfffffc10, v19
	v_sub_nc_u32_e32 v30, 0x3f1, v21
	v_sub_nc_u32_e32 v31, 0x3f1, v23
	v_med3_i32 v16, v28, 0, 13
	v_cndmask_b32_e64 v10, 0, 1, vcc_lo
	v_cmp_ne_u32_e32 vcc_lo, 0, v12
	v_med3_i32 v18, v29, 0, 13
	v_and_or_b32 v6, 0xffe, v20, v6
	v_or_b32_e32 v28, 0x1000, v2
	v_lshl_or_b32 v29, v17, 12, v2
	v_cndmask_b32_e64 v12, 0, 1, vcc_lo
	v_cmp_ne_u32_e32 vcc_lo, 0, v2
	v_lshrrev_b32_e32 v24, 8, v11
	v_lshrrev_b32_e32 v26, 8, v13
	v_add_nc_u32_e32 v21, 0xfffffc10, v21
	v_sub_nc_u32_e32 v32, 0x3f1, v25
	v_cndmask_b32_e64 v2, 0, 1, vcc_lo
	v_cmp_ne_u32_e32 vcc_lo, 0, v4
	v_sub_nc_u32_e32 v33, 0x3f1, v27
	v_med3_i32 v20, v30, 0, 13
	v_and_or_b32 v8, 0xffe, v22, v8
	v_med3_i32 v22, v31, 0, 13
	v_or_b32_e32 v30, 0x1000, v4
	v_lshl_or_b32 v31, v19, 12, v4
	v_cndmask_b32_e64 v4, 0, 1, vcc_lo
	v_cmp_ne_u32_e32 vcc_lo, 0, v6
	v_add_nc_u32_e32 v23, 0xfffffc10, v23
	v_and_or_b32 v10, 0xffe, v24, v10
	v_med3_i32 v24, v32, 0, 13
	v_and_or_b32 v12, 0xffe, v26, v12
	v_med3_i32 v26, v33, 0, 13
	v_or_b32_e32 v32, 0x1000, v6
	v_lshl_or_b32 v33, v21, 12, v6
	v_cndmask_b32_e64 v6, 0, 1, vcc_lo
	v_cmp_ne_u32_e32 vcc_lo, 0, v8
	v_add_nc_u32_e32 v25, 0xfffffc10, v25
	v_or_b32_e32 v34, 0x1000, v8
	v_lshl_or_b32 v35, v23, 12, v8
	v_lshrrev_b32_e32 v40, v16, v28
	v_cndmask_b32_e64 v8, 0, 1, vcc_lo
	v_cmp_ne_u32_e32 vcc_lo, 0, v10
	v_add_nc_u32_e32 v27, 0xfffffc10, v27
	v_or_b32_e32 v36, 0x1000, v10
	v_lshl_or_b32 v37, v25, 12, v10
	v_lshrrev_b32_e32 v41, v18, v30
	v_cndmask_b32_e64 v10, 0, 1, vcc_lo
	v_cmp_ne_u32_e32 vcc_lo, 0, v12
	v_lshlrev_b32_e32 v16, v16, v40
	v_or_b32_e32 v38, 0x1000, v12
	v_lshl_or_b32 v39, v27, 12, v12
	v_lshrrev_b32_e32 v42, v20, v32
	v_cndmask_b32_e64 v12, 0, 1, vcc_lo
	v_lshlrev_b32_e32 v18, v18, v41
	v_cmp_ne_u32_e32 vcc_lo, v16, v28
	v_lshrrev_b32_e32 v43, v22, v34
	v_lshlrev_b32_e32 v20, v20, v42
	v_lshrrev_b32_e32 v44, v24, v36
	v_lshrrev_b32_e32 v45, v26, v38
	v_cndmask_b32_e64 v16, 0, 1, vcc_lo
	v_cmp_ne_u32_e32 vcc_lo, v18, v30
	v_lshlrev_b32_e32 v22, v22, v43
	v_lshlrev_b32_e32 v24, v24, v44
	;; [unrolled: 1-line block ×3, first 2 shown]
	v_or_b32_e32 v16, v40, v16
	v_cndmask_b32_e64 v18, 0, 1, vcc_lo
	v_cmp_ne_u32_e32 vcc_lo, v20, v32
	v_lshl_or_b32 v2, v2, 9, 0x7c00
	v_lshl_or_b32 v4, v4, 9, 0x7c00
	;; [unrolled: 1-line block ×3, first 2 shown]
	v_or_b32_e32 v18, v41, v18
	v_cndmask_b32_e64 v20, 0, 1, vcc_lo
	v_cmp_ne_u32_e32 vcc_lo, v22, v34
	v_lshl_or_b32 v8, v8, 9, 0x7c00
	v_lshl_or_b32 v10, v10, 9, 0x7c00
	v_lshrrev_b32_e32 v3, 16, v3
	v_or_b32_e32 v20, v42, v20
	v_cndmask_b32_e64 v22, 0, 1, vcc_lo
	v_cmp_ne_u32_e32 vcc_lo, v24, v36
	v_lshrrev_b32_e32 v7, 16, v7
	v_lshrrev_b32_e32 v5, 16, v5
	;; [unrolled: 1-line block ×3, first 2 shown]
	v_or_b32_e32 v22, v43, v22
	v_cndmask_b32_e64 v24, 0, 1, vcc_lo
	v_cmp_ne_u32_e32 vcc_lo, v26, v38
	v_lshl_or_b32 v12, v12, 9, 0x7c00
	v_lshrrev_b32_e32 v9, 16, v9
	v_lshrrev_b32_e32 v13, 16, v13
	v_or_b32_e32 v24, v44, v24
	v_cndmask_b32_e64 v26, 0, 1, vcc_lo
	v_cmp_gt_i32_e32 vcc_lo, 1, v17
	v_or_b32_e32 v26, v45, v26
	v_cndmask_b32_e32 v16, v29, v16, vcc_lo
	v_cmp_gt_i32_e32 vcc_lo, 1, v19
	v_and_b32_e32 v28, 7, v16
	v_cndmask_b32_e32 v18, v31, v18, vcc_lo
	v_cmp_gt_i32_e32 vcc_lo, 1, v21
	v_lshrrev_b32_e32 v16, 2, v16
	v_cmp_eq_u32_e64 s0, 3, v28
	v_and_b32_e32 v29, 7, v18
	v_cndmask_b32_e32 v20, v33, v20, vcc_lo
	v_cmp_gt_i32_e32 vcc_lo, 1, v23
	v_lshrrev_b32_e32 v18, 2, v18
	v_cmp_lt_i32_e64 s1, 5, v29
	v_and_b32_e32 v30, 7, v20
	v_cndmask_b32_e32 v22, v35, v22, vcc_lo
	v_cmp_gt_i32_e32 vcc_lo, 1, v25
	v_cmp_eq_u32_e64 s2, 3, v29
	v_lshrrev_b32_e32 v20, 2, v20
	v_cmp_lt_i32_e64 s3, 5, v30
	v_and_b32_e32 v31, 7, v22
	v_cndmask_b32_e32 v24, v37, v24, vcc_lo
	v_cmp_gt_i32_e32 vcc_lo, 1, v27
	v_cmp_eq_u32_e64 s4, 3, v30
	v_lshrrev_b32_e32 v22, 2, v22
	v_cmp_lt_i32_e64 s5, 5, v31
	v_and_b32_e32 v32, 7, v24
	v_cndmask_b32_e32 v26, v39, v26, vcc_lo
	v_cmp_lt_i32_e32 vcc_lo, 5, v28
	v_cmp_eq_u32_e64 s6, 3, v31
	v_lshrrev_b32_e32 v24, 2, v24
	v_cmp_lt_i32_e64 s7, 5, v32
	v_and_b32_e32 v33, 7, v26
	s_or_b32 vcc_lo, s0, vcc_lo
	v_cmp_eq_u32_e64 s8, 3, v32
	v_add_co_ci_u32_e32 v16, vcc_lo, 0, v16, vcc_lo
	s_or_b32 vcc_lo, s2, s1
	v_cmp_lt_i32_e64 s9, 5, v33
	v_add_co_ci_u32_e32 v18, vcc_lo, 0, v18, vcc_lo
	s_or_b32 vcc_lo, s4, s3
	v_cmp_eq_u32_e64 s10, 3, v33
	v_add_co_ci_u32_e32 v20, vcc_lo, 0, v20, vcc_lo
	s_or_b32 vcc_lo, s6, s5
	v_lshrrev_b32_e32 v26, 2, v26
	v_add_co_ci_u32_e32 v22, vcc_lo, 0, v22, vcc_lo
	s_or_b32 vcc_lo, s8, s7
	v_add_co_ci_u32_e32 v24, vcc_lo, 0, v24, vcc_lo
	s_or_b32 vcc_lo, s10, s9
	v_add_co_ci_u32_e32 v26, vcc_lo, 0, v26, vcc_lo
	v_cmp_gt_i32_e32 vcc_lo, 31, v17
	v_cndmask_b32_e32 v16, 0x7c00, v16, vcc_lo
	v_cmp_gt_i32_e32 vcc_lo, 31, v19
	v_cndmask_b32_e32 v18, 0x7c00, v18, vcc_lo
	;; [unrolled: 2-line block ×6, first 2 shown]
	v_cmp_eq_u32_e32 vcc_lo, 0x40f, v17
	v_cndmask_b32_e32 v2, v16, v2, vcc_lo
	v_cmp_eq_u32_e32 vcc_lo, 0x40f, v19
	v_and_or_b32 v2, 0x8000, v3, v2
	v_cndmask_b32_e32 v4, v18, v4, vcc_lo
	v_cmp_eq_u32_e32 vcc_lo, 0x40f, v21
	v_and_or_b32 v4, 0x8000, v5, v4
	;; [unrolled: 3-line block ×4, first 2 shown]
	v_cndmask_b32_e32 v10, v24, v10, vcc_lo
	v_cmp_eq_u32_e32 vcc_lo, 0x40f, v27
	v_and_b32_e32 v8, 0xffff, v2
	v_and_b32_e32 v9, 0xffff, v3
	v_and_or_b32 v5, 0x8000, v11, v10
	v_cndmask_b32_e32 v12, v26, v12, vcc_lo
	v_add_co_u32 v2, vcc_lo, v14, s12
	v_lshl_or_b32 v4, v4, 16, v8
	v_and_b32_e32 v5, 0xffff, v5
	v_and_or_b32 v7, 0x8000, v13, v12
	v_lshl_or_b32 v6, v6, 16, v9
	v_add_co_ci_u32_e32 v3, vcc_lo, s13, v15, vcc_lo
	v_lshl_or_b32 v5, v7, 16, v5
	global_store_dword v[0:1], v4, off
	global_store_dword v[14:15], v6, off
	;; [unrolled: 1-line block ×3, first 2 shown]
.LBB0_31:
	s_endpgm
	.section	.rodata,"a",@progbits
	.p2align	6, 0x0
	.amdhsa_kernel bluestein_single_back_len540_dim1_half_op_CI_CI
		.amdhsa_group_segment_fixed_size 8640
		.amdhsa_private_segment_fixed_size 0
		.amdhsa_kernarg_size 104
		.amdhsa_user_sgpr_count 6
		.amdhsa_user_sgpr_private_segment_buffer 1
		.amdhsa_user_sgpr_dispatch_ptr 0
		.amdhsa_user_sgpr_queue_ptr 0
		.amdhsa_user_sgpr_kernarg_segment_ptr 1
		.amdhsa_user_sgpr_dispatch_id 0
		.amdhsa_user_sgpr_flat_scratch_init 0
		.amdhsa_user_sgpr_private_segment_size 0
		.amdhsa_wavefront_size32 1
		.amdhsa_uses_dynamic_stack 0
		.amdhsa_system_sgpr_private_segment_wavefront_offset 0
		.amdhsa_system_sgpr_workgroup_id_x 1
		.amdhsa_system_sgpr_workgroup_id_y 0
		.amdhsa_system_sgpr_workgroup_id_z 0
		.amdhsa_system_sgpr_workgroup_info 0
		.amdhsa_system_vgpr_workitem_id 0
		.amdhsa_next_free_vgpr 108
		.amdhsa_next_free_sgpr 16
		.amdhsa_reserve_vcc 1
		.amdhsa_reserve_flat_scratch 0
		.amdhsa_float_round_mode_32 0
		.amdhsa_float_round_mode_16_64 0
		.amdhsa_float_denorm_mode_32 3
		.amdhsa_float_denorm_mode_16_64 3
		.amdhsa_dx10_clamp 1
		.amdhsa_ieee_mode 1
		.amdhsa_fp16_overflow 0
		.amdhsa_workgroup_processor_mode 1
		.amdhsa_memory_ordered 1
		.amdhsa_forward_progress 0
		.amdhsa_shared_vgpr_count 0
		.amdhsa_exception_fp_ieee_invalid_op 0
		.amdhsa_exception_fp_denorm_src 0
		.amdhsa_exception_fp_ieee_div_zero 0
		.amdhsa_exception_fp_ieee_overflow 0
		.amdhsa_exception_fp_ieee_underflow 0
		.amdhsa_exception_fp_ieee_inexact 0
		.amdhsa_exception_int_div_zero 0
	.end_amdhsa_kernel
	.text
.Lfunc_end0:
	.size	bluestein_single_back_len540_dim1_half_op_CI_CI, .Lfunc_end0-bluestein_single_back_len540_dim1_half_op_CI_CI
                                        ; -- End function
	.section	.AMDGPU.csdata,"",@progbits
; Kernel info:
; codeLenInByte = 18112
; NumSgprs: 18
; NumVgprs: 108
; ScratchSize: 0
; MemoryBound: 0
; FloatMode: 240
; IeeeMode: 1
; LDSByteSize: 8640 bytes/workgroup (compile time only)
; SGPRBlocks: 2
; VGPRBlocks: 13
; NumSGPRsForWavesPerEU: 18
; NumVGPRsForWavesPerEU: 108
; Occupancy: 9
; WaveLimiterHint : 1
; COMPUTE_PGM_RSRC2:SCRATCH_EN: 0
; COMPUTE_PGM_RSRC2:USER_SGPR: 6
; COMPUTE_PGM_RSRC2:TRAP_HANDLER: 0
; COMPUTE_PGM_RSRC2:TGID_X_EN: 1
; COMPUTE_PGM_RSRC2:TGID_Y_EN: 0
; COMPUTE_PGM_RSRC2:TGID_Z_EN: 0
; COMPUTE_PGM_RSRC2:TIDIG_COMP_CNT: 0
	.text
	.p2alignl 6, 3214868480
	.fill 48, 4, 3214868480
	.type	__hip_cuid_7fc9c2095501f851,@object ; @__hip_cuid_7fc9c2095501f851
	.section	.bss,"aw",@nobits
	.globl	__hip_cuid_7fc9c2095501f851
__hip_cuid_7fc9c2095501f851:
	.byte	0                               ; 0x0
	.size	__hip_cuid_7fc9c2095501f851, 1

	.ident	"AMD clang version 19.0.0git (https://github.com/RadeonOpenCompute/llvm-project roc-6.4.0 25133 c7fe45cf4b819c5991fe208aaa96edf142730f1d)"
	.section	".note.GNU-stack","",@progbits
	.addrsig
	.addrsig_sym __hip_cuid_7fc9c2095501f851
	.amdgpu_metadata
---
amdhsa.kernels:
  - .args:
      - .actual_access:  read_only
        .address_space:  global
        .offset:         0
        .size:           8
        .value_kind:     global_buffer
      - .actual_access:  read_only
        .address_space:  global
        .offset:         8
        .size:           8
        .value_kind:     global_buffer
      - .actual_access:  read_only
        .address_space:  global
        .offset:         16
        .size:           8
        .value_kind:     global_buffer
      - .actual_access:  read_only
        .address_space:  global
        .offset:         24
        .size:           8
        .value_kind:     global_buffer
      - .actual_access:  read_only
        .address_space:  global
        .offset:         32
        .size:           8
        .value_kind:     global_buffer
      - .offset:         40
        .size:           8
        .value_kind:     by_value
      - .address_space:  global
        .offset:         48
        .size:           8
        .value_kind:     global_buffer
      - .address_space:  global
        .offset:         56
        .size:           8
        .value_kind:     global_buffer
      - .address_space:  global
        .offset:         64
        .size:           8
        .value_kind:     global_buffer
      - .address_space:  global
        .offset:         72
        .size:           8
        .value_kind:     global_buffer
      - .offset:         80
        .size:           4
        .value_kind:     by_value
      - .address_space:  global
        .offset:         88
        .size:           8
        .value_kind:     global_buffer
      - .address_space:  global
        .offset:         96
        .size:           8
        .value_kind:     global_buffer
    .group_segment_fixed_size: 8640
    .kernarg_segment_align: 8
    .kernarg_segment_size: 104
    .language:       OpenCL C
    .language_version:
      - 2
      - 0
    .max_flat_workgroup_size: 216
    .name:           bluestein_single_back_len540_dim1_half_op_CI_CI
    .private_segment_fixed_size: 0
    .sgpr_count:     18
    .sgpr_spill_count: 0
    .symbol:         bluestein_single_back_len540_dim1_half_op_CI_CI.kd
    .uniform_work_group_size: 1
    .uses_dynamic_stack: false
    .vgpr_count:     108
    .vgpr_spill_count: 0
    .wavefront_size: 32
    .workgroup_processor_mode: 1
amdhsa.target:   amdgcn-amd-amdhsa--gfx1030
amdhsa.version:
  - 1
  - 2
...

	.end_amdgpu_metadata
